;; amdgpu-corpus repo=ROCm/rocFFT kind=compiled arch=gfx1100 opt=O3
	.text
	.amdgcn_target "amdgcn-amd-amdhsa--gfx1100"
	.amdhsa_code_object_version 6
	.protected	fft_rtc_back_len1650_factors_11_2_3_5_5_wgs_110_tpt_110_halfLds_dp_op_CI_CI_unitstride_sbrr_C2R_dirReg ; -- Begin function fft_rtc_back_len1650_factors_11_2_3_5_5_wgs_110_tpt_110_halfLds_dp_op_CI_CI_unitstride_sbrr_C2R_dirReg
	.globl	fft_rtc_back_len1650_factors_11_2_3_5_5_wgs_110_tpt_110_halfLds_dp_op_CI_CI_unitstride_sbrr_C2R_dirReg
	.p2align	8
	.type	fft_rtc_back_len1650_factors_11_2_3_5_5_wgs_110_tpt_110_halfLds_dp_op_CI_CI_unitstride_sbrr_C2R_dirReg,@function
fft_rtc_back_len1650_factors_11_2_3_5_5_wgs_110_tpt_110_halfLds_dp_op_CI_CI_unitstride_sbrr_C2R_dirReg: ; @fft_rtc_back_len1650_factors_11_2_3_5_5_wgs_110_tpt_110_halfLds_dp_op_CI_CI_unitstride_sbrr_C2R_dirReg
; %bb.0:
	s_clause 0x2
	s_load_b128 s[8:11], s[0:1], 0x0
	s_load_b128 s[4:7], s[0:1], 0x58
	;; [unrolled: 1-line block ×3, first 2 shown]
	v_mul_u32_u24_e32 v1, 0x254, v0
	v_mov_b32_e32 v3, 0
	s_delay_alu instid0(VALU_DEP_2) | instskip(NEXT) | instid1(VALU_DEP_1)
	v_lshrrev_b32_e32 v1, 16, v1
	v_add_nc_u32_e32 v5, s15, v1
	v_mov_b32_e32 v1, 0
	v_mov_b32_e32 v2, 0
	;; [unrolled: 1-line block ×3, first 2 shown]
	s_waitcnt lgkmcnt(0)
	v_cmp_lt_u64_e64 s2, s[10:11], 2
	s_delay_alu instid0(VALU_DEP_1)
	s_and_b32 vcc_lo, exec_lo, s2
	s_cbranch_vccnz .LBB0_8
; %bb.1:
	s_load_b64 s[2:3], s[0:1], 0x10
	v_mov_b32_e32 v1, 0
	v_mov_b32_e32 v2, 0
	s_add_u32 s12, s18, 8
	s_addc_u32 s13, s19, 0
	s_add_u32 s14, s16, 8
	s_addc_u32 s15, s17, 0
	v_dual_mov_b32 v65, v2 :: v_dual_mov_b32 v64, v1
	s_mov_b64 s[22:23], 1
	s_waitcnt lgkmcnt(0)
	s_add_u32 s20, s2, 8
	s_addc_u32 s21, s3, 0
.LBB0_2:                                ; =>This Inner Loop Header: Depth=1
	s_load_b64 s[24:25], s[20:21], 0x0
                                        ; implicit-def: $vgpr68_vgpr69
	s_mov_b32 s2, exec_lo
	s_waitcnt lgkmcnt(0)
	v_or_b32_e32 v4, s25, v6
	s_delay_alu instid0(VALU_DEP_1)
	v_cmpx_ne_u64_e32 0, v[3:4]
	s_xor_b32 s3, exec_lo, s2
	s_cbranch_execz .LBB0_4
; %bb.3:                                ;   in Loop: Header=BB0_2 Depth=1
	v_cvt_f32_u32_e32 v4, s24
	v_cvt_f32_u32_e32 v7, s25
	s_sub_u32 s2, 0, s24
	s_subb_u32 s26, 0, s25
	s_delay_alu instid0(VALU_DEP_1) | instskip(NEXT) | instid1(VALU_DEP_1)
	v_fmac_f32_e32 v4, 0x4f800000, v7
	v_rcp_f32_e32 v4, v4
	s_waitcnt_depctr 0xfff
	v_mul_f32_e32 v4, 0x5f7ffffc, v4
	s_delay_alu instid0(VALU_DEP_1) | instskip(NEXT) | instid1(VALU_DEP_1)
	v_mul_f32_e32 v7, 0x2f800000, v4
	v_trunc_f32_e32 v7, v7
	s_delay_alu instid0(VALU_DEP_1) | instskip(SKIP_1) | instid1(VALU_DEP_2)
	v_fmac_f32_e32 v4, 0xcf800000, v7
	v_cvt_u32_f32_e32 v7, v7
	v_cvt_u32_f32_e32 v4, v4
	s_delay_alu instid0(VALU_DEP_2) | instskip(NEXT) | instid1(VALU_DEP_2)
	v_mul_lo_u32 v8, s2, v7
	v_mul_hi_u32 v9, s2, v4
	v_mul_lo_u32 v10, s26, v4
	s_delay_alu instid0(VALU_DEP_2) | instskip(SKIP_1) | instid1(VALU_DEP_2)
	v_add_nc_u32_e32 v8, v9, v8
	v_mul_lo_u32 v9, s2, v4
	v_add_nc_u32_e32 v8, v8, v10
	s_delay_alu instid0(VALU_DEP_2) | instskip(NEXT) | instid1(VALU_DEP_2)
	v_mul_hi_u32 v10, v4, v9
	v_mul_lo_u32 v11, v4, v8
	v_mul_hi_u32 v12, v4, v8
	v_mul_hi_u32 v13, v7, v9
	v_mul_lo_u32 v9, v7, v9
	v_mul_hi_u32 v14, v7, v8
	v_mul_lo_u32 v8, v7, v8
	v_add_co_u32 v10, vcc_lo, v10, v11
	v_add_co_ci_u32_e32 v11, vcc_lo, 0, v12, vcc_lo
	s_delay_alu instid0(VALU_DEP_2) | instskip(NEXT) | instid1(VALU_DEP_2)
	v_add_co_u32 v9, vcc_lo, v10, v9
	v_add_co_ci_u32_e32 v9, vcc_lo, v11, v13, vcc_lo
	v_add_co_ci_u32_e32 v10, vcc_lo, 0, v14, vcc_lo
	s_delay_alu instid0(VALU_DEP_2) | instskip(NEXT) | instid1(VALU_DEP_2)
	v_add_co_u32 v8, vcc_lo, v9, v8
	v_add_co_ci_u32_e32 v9, vcc_lo, 0, v10, vcc_lo
	s_delay_alu instid0(VALU_DEP_2) | instskip(NEXT) | instid1(VALU_DEP_2)
	v_add_co_u32 v4, vcc_lo, v4, v8
	v_add_co_ci_u32_e32 v7, vcc_lo, v7, v9, vcc_lo
	s_delay_alu instid0(VALU_DEP_2) | instskip(SKIP_1) | instid1(VALU_DEP_3)
	v_mul_hi_u32 v8, s2, v4
	v_mul_lo_u32 v10, s26, v4
	v_mul_lo_u32 v9, s2, v7
	s_delay_alu instid0(VALU_DEP_1) | instskip(SKIP_1) | instid1(VALU_DEP_2)
	v_add_nc_u32_e32 v8, v8, v9
	v_mul_lo_u32 v9, s2, v4
	v_add_nc_u32_e32 v8, v8, v10
	s_delay_alu instid0(VALU_DEP_2) | instskip(NEXT) | instid1(VALU_DEP_2)
	v_mul_hi_u32 v10, v4, v9
	v_mul_lo_u32 v11, v4, v8
	v_mul_hi_u32 v12, v4, v8
	v_mul_hi_u32 v13, v7, v9
	v_mul_lo_u32 v9, v7, v9
	v_mul_hi_u32 v14, v7, v8
	v_mul_lo_u32 v8, v7, v8
	v_add_co_u32 v10, vcc_lo, v10, v11
	v_add_co_ci_u32_e32 v11, vcc_lo, 0, v12, vcc_lo
	s_delay_alu instid0(VALU_DEP_2) | instskip(NEXT) | instid1(VALU_DEP_2)
	v_add_co_u32 v9, vcc_lo, v10, v9
	v_add_co_ci_u32_e32 v9, vcc_lo, v11, v13, vcc_lo
	v_add_co_ci_u32_e32 v10, vcc_lo, 0, v14, vcc_lo
	s_delay_alu instid0(VALU_DEP_2) | instskip(NEXT) | instid1(VALU_DEP_2)
	v_add_co_u32 v8, vcc_lo, v9, v8
	v_add_co_ci_u32_e32 v9, vcc_lo, 0, v10, vcc_lo
	s_delay_alu instid0(VALU_DEP_2) | instskip(NEXT) | instid1(VALU_DEP_2)
	v_add_co_u32 v4, vcc_lo, v4, v8
	v_add_co_ci_u32_e32 v13, vcc_lo, v7, v9, vcc_lo
	s_delay_alu instid0(VALU_DEP_2) | instskip(SKIP_1) | instid1(VALU_DEP_3)
	v_mul_hi_u32 v14, v5, v4
	v_mad_u64_u32 v[9:10], null, v6, v4, 0
	v_mad_u64_u32 v[7:8], null, v5, v13, 0
	;; [unrolled: 1-line block ×3, first 2 shown]
	s_delay_alu instid0(VALU_DEP_2) | instskip(NEXT) | instid1(VALU_DEP_3)
	v_add_co_u32 v4, vcc_lo, v14, v7
	v_add_co_ci_u32_e32 v7, vcc_lo, 0, v8, vcc_lo
	s_delay_alu instid0(VALU_DEP_2) | instskip(NEXT) | instid1(VALU_DEP_2)
	v_add_co_u32 v4, vcc_lo, v4, v9
	v_add_co_ci_u32_e32 v4, vcc_lo, v7, v10, vcc_lo
	v_add_co_ci_u32_e32 v7, vcc_lo, 0, v12, vcc_lo
	s_delay_alu instid0(VALU_DEP_2) | instskip(NEXT) | instid1(VALU_DEP_2)
	v_add_co_u32 v4, vcc_lo, v4, v11
	v_add_co_ci_u32_e32 v9, vcc_lo, 0, v7, vcc_lo
	s_delay_alu instid0(VALU_DEP_2) | instskip(SKIP_1) | instid1(VALU_DEP_3)
	v_mul_lo_u32 v10, s25, v4
	v_mad_u64_u32 v[7:8], null, s24, v4, 0
	v_mul_lo_u32 v11, s24, v9
	s_delay_alu instid0(VALU_DEP_2) | instskip(NEXT) | instid1(VALU_DEP_2)
	v_sub_co_u32 v7, vcc_lo, v5, v7
	v_add3_u32 v8, v8, v11, v10
	s_delay_alu instid0(VALU_DEP_1) | instskip(NEXT) | instid1(VALU_DEP_1)
	v_sub_nc_u32_e32 v10, v6, v8
	v_subrev_co_ci_u32_e64 v10, s2, s25, v10, vcc_lo
	v_add_co_u32 v11, s2, v4, 2
	s_delay_alu instid0(VALU_DEP_1) | instskip(SKIP_3) | instid1(VALU_DEP_3)
	v_add_co_ci_u32_e64 v12, s2, 0, v9, s2
	v_sub_co_u32 v13, s2, v7, s24
	v_sub_co_ci_u32_e32 v8, vcc_lo, v6, v8, vcc_lo
	v_subrev_co_ci_u32_e64 v10, s2, 0, v10, s2
	v_cmp_le_u32_e32 vcc_lo, s24, v13
	s_delay_alu instid0(VALU_DEP_3) | instskip(SKIP_1) | instid1(VALU_DEP_4)
	v_cmp_eq_u32_e64 s2, s25, v8
	v_cndmask_b32_e64 v13, 0, -1, vcc_lo
	v_cmp_le_u32_e32 vcc_lo, s25, v10
	v_cndmask_b32_e64 v14, 0, -1, vcc_lo
	v_cmp_le_u32_e32 vcc_lo, s24, v7
	;; [unrolled: 2-line block ×3, first 2 shown]
	v_cndmask_b32_e64 v15, 0, -1, vcc_lo
	v_cmp_eq_u32_e32 vcc_lo, s25, v10
	s_delay_alu instid0(VALU_DEP_2) | instskip(SKIP_3) | instid1(VALU_DEP_3)
	v_cndmask_b32_e64 v7, v15, v7, s2
	v_cndmask_b32_e32 v10, v14, v13, vcc_lo
	v_add_co_u32 v13, vcc_lo, v4, 1
	v_add_co_ci_u32_e32 v14, vcc_lo, 0, v9, vcc_lo
	v_cmp_ne_u32_e32 vcc_lo, 0, v10
	s_delay_alu instid0(VALU_DEP_2) | instskip(NEXT) | instid1(VALU_DEP_4)
	v_cndmask_b32_e32 v8, v14, v12, vcc_lo
	v_cndmask_b32_e32 v10, v13, v11, vcc_lo
	v_cmp_ne_u32_e32 vcc_lo, 0, v7
	s_delay_alu instid0(VALU_DEP_2)
	v_dual_cndmask_b32 v69, v9, v8 :: v_dual_cndmask_b32 v68, v4, v10
.LBB0_4:                                ;   in Loop: Header=BB0_2 Depth=1
	s_and_not1_saveexec_b32 s2, s3
	s_cbranch_execz .LBB0_6
; %bb.5:                                ;   in Loop: Header=BB0_2 Depth=1
	v_cvt_f32_u32_e32 v4, s24
	s_sub_i32 s3, 0, s24
	v_mov_b32_e32 v69, v3
	s_delay_alu instid0(VALU_DEP_2) | instskip(SKIP_2) | instid1(VALU_DEP_1)
	v_rcp_iflag_f32_e32 v4, v4
	s_waitcnt_depctr 0xfff
	v_mul_f32_e32 v4, 0x4f7ffffe, v4
	v_cvt_u32_f32_e32 v4, v4
	s_delay_alu instid0(VALU_DEP_1) | instskip(NEXT) | instid1(VALU_DEP_1)
	v_mul_lo_u32 v7, s3, v4
	v_mul_hi_u32 v7, v4, v7
	s_delay_alu instid0(VALU_DEP_1) | instskip(NEXT) | instid1(VALU_DEP_1)
	v_add_nc_u32_e32 v4, v4, v7
	v_mul_hi_u32 v4, v5, v4
	s_delay_alu instid0(VALU_DEP_1) | instskip(SKIP_1) | instid1(VALU_DEP_2)
	v_mul_lo_u32 v7, v4, s24
	v_add_nc_u32_e32 v8, 1, v4
	v_sub_nc_u32_e32 v7, v5, v7
	s_delay_alu instid0(VALU_DEP_1) | instskip(SKIP_1) | instid1(VALU_DEP_2)
	v_subrev_nc_u32_e32 v9, s24, v7
	v_cmp_le_u32_e32 vcc_lo, s24, v7
	v_dual_cndmask_b32 v7, v7, v9 :: v_dual_cndmask_b32 v4, v4, v8
	s_delay_alu instid0(VALU_DEP_1) | instskip(NEXT) | instid1(VALU_DEP_2)
	v_cmp_le_u32_e32 vcc_lo, s24, v7
	v_add_nc_u32_e32 v8, 1, v4
	s_delay_alu instid0(VALU_DEP_1)
	v_cndmask_b32_e32 v68, v4, v8, vcc_lo
.LBB0_6:                                ;   in Loop: Header=BB0_2 Depth=1
	s_or_b32 exec_lo, exec_lo, s2
	s_delay_alu instid0(VALU_DEP_1) | instskip(NEXT) | instid1(VALU_DEP_2)
	v_mul_lo_u32 v4, v69, s24
	v_mul_lo_u32 v9, v68, s25
	s_load_b64 s[2:3], s[14:15], 0x0
	v_mad_u64_u32 v[7:8], null, v68, s24, 0
	s_load_b64 s[24:25], s[12:13], 0x0
	s_add_u32 s22, s22, 1
	s_addc_u32 s23, s23, 0
	s_add_u32 s12, s12, 8
	s_addc_u32 s13, s13, 0
	s_add_u32 s14, s14, 8
	s_delay_alu instid0(VALU_DEP_1) | instskip(SKIP_3) | instid1(VALU_DEP_2)
	v_add3_u32 v4, v8, v9, v4
	v_sub_co_u32 v8, vcc_lo, v5, v7
	s_addc_u32 s15, s15, 0
	s_add_u32 s20, s20, 8
	v_sub_co_ci_u32_e32 v6, vcc_lo, v6, v4, vcc_lo
	s_addc_u32 s21, s21, 0
	s_waitcnt lgkmcnt(0)
	s_delay_alu instid0(VALU_DEP_1)
	v_mul_lo_u32 v9, s2, v6
	v_mul_lo_u32 v10, s3, v8
	v_mad_u64_u32 v[4:5], null, s2, v8, v[1:2]
	v_mul_lo_u32 v11, s24, v6
	v_mul_lo_u32 v12, s25, v8
	v_mad_u64_u32 v[6:7], null, s24, v8, v[64:65]
	v_cmp_ge_u64_e64 s2, s[22:23], s[10:11]
	v_add3_u32 v2, v10, v5, v9
	s_delay_alu instid0(VALU_DEP_3) | instskip(NEXT) | instid1(VALU_DEP_4)
	v_dual_mov_b32 v1, v4 :: v_dual_mov_b32 v64, v6
	v_add3_u32 v65, v12, v7, v11
	s_delay_alu instid0(VALU_DEP_4)
	s_and_b32 vcc_lo, exec_lo, s2
	s_cbranch_vccnz .LBB0_9
; %bb.7:                                ;   in Loop: Header=BB0_2 Depth=1
	v_dual_mov_b32 v5, v68 :: v_dual_mov_b32 v6, v69
	s_branch .LBB0_2
.LBB0_8:
	v_dual_mov_b32 v65, v2 :: v_dual_mov_b32 v64, v1
	v_dual_mov_b32 v69, v6 :: v_dual_mov_b32 v68, v5
.LBB0_9:
	s_load_b64 s[0:1], s[0:1], 0x28
	v_mul_hi_u32 v3, 0x253c826, v0
	s_lshl_b64 s[10:11], s[10:11], 3
                                        ; implicit-def: $vgpr66
	s_delay_alu instid0(SALU_CYCLE_1) | instskip(SKIP_4) | instid1(VALU_DEP_1)
	s_add_u32 s2, s18, s10
	s_addc_u32 s3, s19, s11
	s_waitcnt lgkmcnt(0)
	v_cmp_gt_u64_e32 vcc_lo, s[0:1], v[68:69]
	v_cmp_le_u64_e64 s0, s[0:1], v[68:69]
	s_and_saveexec_b32 s1, s0
	s_delay_alu instid0(SALU_CYCLE_1)
	s_xor_b32 s0, exec_lo, s1
; %bb.10:
	v_mul_u32_u24_e32 v1, 0x6e, v3
                                        ; implicit-def: $vgpr3
	s_delay_alu instid0(VALU_DEP_1)
	v_sub_nc_u32_e32 v66, v0, v1
                                        ; implicit-def: $vgpr0
                                        ; implicit-def: $vgpr1_vgpr2
; %bb.11:
	s_or_saveexec_b32 s1, s0
	s_load_b64 s[2:3], s[2:3], 0x0
	s_xor_b32 exec_lo, exec_lo, s1
	s_cbranch_execz .LBB0_15
; %bb.12:
	s_add_u32 s10, s16, s10
	s_addc_u32 s11, s17, s11
	v_lshlrev_b64 v[1:2], 4, v[1:2]
	s_load_b64 s[10:11], s[10:11], 0x0
	s_waitcnt lgkmcnt(0)
	v_mul_lo_u32 v6, s11, v68
	v_mul_lo_u32 v7, s10, v69
	v_mad_u64_u32 v[4:5], null, s10, v68, 0
	s_delay_alu instid0(VALU_DEP_1) | instskip(SKIP_1) | instid1(VALU_DEP_2)
	v_add3_u32 v5, v5, v7, v6
	v_mul_u32_u24_e32 v6, 0x6e, v3
	v_lshlrev_b64 v[3:4], 4, v[4:5]
	s_delay_alu instid0(VALU_DEP_2) | instskip(NEXT) | instid1(VALU_DEP_1)
	v_sub_nc_u32_e32 v66, v0, v6
	v_lshlrev_b32_e32 v62, 4, v66
	s_delay_alu instid0(VALU_DEP_3) | instskip(NEXT) | instid1(VALU_DEP_1)
	v_add_co_u32 v0, s0, s4, v3
	v_add_co_ci_u32_e64 v3, s0, s5, v4, s0
	s_mov_b32 s4, exec_lo
	s_delay_alu instid0(VALU_DEP_2) | instskip(NEXT) | instid1(VALU_DEP_1)
	v_add_co_u32 v0, s0, v0, v1
	v_add_co_ci_u32_e64 v1, s0, v3, v2, s0
	s_delay_alu instid0(VALU_DEP_2) | instskip(NEXT) | instid1(VALU_DEP_1)
	v_add_co_u32 v10, s0, v0, v62
	v_add_co_ci_u32_e64 v11, s0, 0, v1, s0
	s_clause 0x1
	global_load_b128 v[2:5], v[10:11], off
	global_load_b128 v[6:9], v[10:11], off offset:1760
	v_add_co_u32 v18, s0, 0x1000, v10
	s_delay_alu instid0(VALU_DEP_1) | instskip(SKIP_1) | instid1(VALU_DEP_1)
	v_add_co_ci_u32_e64 v19, s0, 0, v11, s0
	v_add_co_u32 v26, s0, 0x2000, v10
	v_add_co_ci_u32_e64 v27, s0, 0, v11, s0
	v_add_co_u32 v38, s0, 0x3000, v10
	s_delay_alu instid0(VALU_DEP_1) | instskip(SKIP_1) | instid1(VALU_DEP_1)
	v_add_co_ci_u32_e64 v39, s0, 0, v11, s0
	v_add_co_u32 v46, s0, 0x4000, v10
	v_add_co_ci_u32_e64 v47, s0, 0, v11, s0
	;; [unrolled: 5-line block ×3, first 2 shown]
	s_clause 0xc
	global_load_b128 v[10:13], v[10:11], off offset:3520
	global_load_b128 v[14:17], v[18:19], off offset:1184
	;; [unrolled: 1-line block ×13, first 2 shown]
	v_add_nc_u32_e32 v62, 0, v62
	s_waitcnt vmcnt(14)
	ds_store_b128 v62, v[2:5]
	s_waitcnt vmcnt(13)
	ds_store_b128 v62, v[6:9] offset:1760
	s_waitcnt vmcnt(12)
	ds_store_b128 v62, v[10:13] offset:3520
	;; [unrolled: 2-line block ×14, first 2 shown]
	v_cmpx_eq_u32_e32 0x6d, v66
	s_cbranch_execz .LBB0_14
; %bb.13:
	v_add_co_u32 v0, s0, 0x6000, v0
	s_delay_alu instid0(VALU_DEP_1)
	v_add_co_ci_u32_e64 v1, s0, 0, v1, s0
	v_mov_b32_e32 v4, 0
	v_mov_b32_e32 v66, 0x6d
	global_load_b128 v[0:3], v[0:1], off offset:1824
	s_waitcnt vmcnt(0)
	ds_store_b128 v4, v[0:3] offset:26400
.LBB0_14:
	s_or_b32 exec_lo, exec_lo, s4
.LBB0_15:
	s_delay_alu instid0(SALU_CYCLE_1)
	s_or_b32 exec_lo, exec_lo, s1
	v_lshlrev_b32_e32 v0, 4, v66
	s_waitcnt lgkmcnt(0)
	s_barrier
	buffer_gl0_inv
	s_add_u32 s1, s8, 0x6670
	v_add_nc_u32_e32 v142, 0, v0
	v_sub_nc_u32_e32 v10, 0, v0
	s_addc_u32 s4, s9, 0
	s_mov_b32 s5, exec_lo
                                        ; implicit-def: $vgpr4_vgpr5
	ds_load_b64 v[6:7], v142
	ds_load_b64 v[8:9], v10 offset:26400
	s_waitcnt lgkmcnt(0)
	v_add_f64 v[0:1], v[6:7], v[8:9]
	v_add_f64 v[2:3], v[6:7], -v[8:9]
	v_cmpx_ne_u32_e32 0, v66
	s_xor_b32 s5, exec_lo, s5
	s_cbranch_execz .LBB0_17
; %bb.16:
	v_mov_b32_e32 v67, 0
	v_add_f64 v[13:14], v[6:7], v[8:9]
	v_add_f64 v[15:16], v[6:7], -v[8:9]
	s_delay_alu instid0(VALU_DEP_3) | instskip(NEXT) | instid1(VALU_DEP_1)
	v_lshlrev_b64 v[0:1], 4, v[66:67]
	v_add_co_u32 v0, s0, s1, v0
	s_delay_alu instid0(VALU_DEP_1)
	v_add_co_ci_u32_e64 v1, s0, s4, v1, s0
	global_load_b128 v[2:5], v[0:1], off
	ds_load_b64 v[0:1], v10 offset:26408
	ds_load_b64 v[11:12], v142 offset:8
	s_waitcnt lgkmcnt(0)
	v_add_f64 v[6:7], v[0:1], v[11:12]
	v_add_f64 v[0:1], v[11:12], -v[0:1]
	s_waitcnt vmcnt(0)
	v_fma_f64 v[8:9], v[15:16], v[4:5], v[13:14]
	v_fma_f64 v[11:12], -v[15:16], v[4:5], v[13:14]
	s_delay_alu instid0(VALU_DEP_3) | instskip(SKIP_1) | instid1(VALU_DEP_4)
	v_fma_f64 v[13:14], v[6:7], v[4:5], -v[0:1]
	v_fma_f64 v[4:5], v[6:7], v[4:5], v[0:1]
	v_fma_f64 v[0:1], -v[6:7], v[2:3], v[8:9]
	s_delay_alu instid0(VALU_DEP_4) | instskip(NEXT) | instid1(VALU_DEP_4)
	v_fma_f64 v[6:7], v[6:7], v[2:3], v[11:12]
	v_fma_f64 v[8:9], v[15:16], v[2:3], v[13:14]
	s_delay_alu instid0(VALU_DEP_4)
	v_fma_f64 v[2:3], v[15:16], v[2:3], v[4:5]
	v_dual_mov_b32 v4, v66 :: v_dual_mov_b32 v5, v67
	ds_store_b128 v10, v[6:9] offset:26400
.LBB0_17:
	s_and_not1_saveexec_b32 s0, s5
	s_cbranch_execz .LBB0_19
; %bb.18:
	v_mov_b32_e32 v8, 0
	ds_load_b128 v[4:7], v8 offset:13200
	s_waitcnt lgkmcnt(0)
	v_add_f64 v[11:12], v[4:5], v[4:5]
	v_mul_f64 v[13:14], v[6:7], -2.0
	v_mov_b32_e32 v4, 0
	v_mov_b32_e32 v5, 0
	ds_store_b128 v8, v[11:14] offset:13200
.LBB0_19:
	s_or_b32 exec_lo, exec_lo, s0
	v_lshlrev_b64 v[4:5], 4, v[4:5]
	s_delay_alu instid0(VALU_DEP_1) | instskip(NEXT) | instid1(VALU_DEP_1)
	v_add_co_u32 v4, s0, s1, v4
	v_add_co_ci_u32_e64 v5, s0, s4, v5, s0
	s_clause 0x1
	global_load_b128 v[6:9], v[4:5], off offset:1760
	global_load_b128 v[11:14], v[4:5], off offset:3520
	ds_store_b128 v142, v[0:3]
	ds_load_b128 v[0:3], v142 offset:1760
	ds_load_b128 v[15:18], v10 offset:24640
	v_add_co_u32 v23, s0, 0x1000, v4
	s_delay_alu instid0(VALU_DEP_1)
	v_add_co_ci_u32_e64 v24, s0, 0, v5, s0
	global_load_b128 v[19:22], v[23:24], off offset:1184
	s_waitcnt lgkmcnt(0)
	v_add_f64 v[25:26], v[0:1], v[15:16]
	v_add_f64 v[27:28], v[17:18], v[2:3]
	v_add_f64 v[29:30], v[0:1], -v[15:16]
	v_add_f64 v[0:1], v[2:3], -v[17:18]
	s_waitcnt vmcnt(2)
	s_delay_alu instid0(VALU_DEP_2) | instskip(NEXT) | instid1(VALU_DEP_2)
	v_fma_f64 v[2:3], v[29:30], v[8:9], v[25:26]
	v_fma_f64 v[15:16], v[27:28], v[8:9], v[0:1]
	v_fma_f64 v[17:18], -v[29:30], v[8:9], v[25:26]
	v_fma_f64 v[8:9], v[27:28], v[8:9], -v[0:1]
	s_delay_alu instid0(VALU_DEP_4) | instskip(NEXT) | instid1(VALU_DEP_4)
	v_fma_f64 v[0:1], -v[27:28], v[6:7], v[2:3]
	v_fma_f64 v[2:3], v[29:30], v[6:7], v[15:16]
	s_delay_alu instid0(VALU_DEP_4) | instskip(NEXT) | instid1(VALU_DEP_4)
	v_fma_f64 v[15:16], v[27:28], v[6:7], v[17:18]
	v_fma_f64 v[17:18], v[29:30], v[6:7], v[8:9]
	ds_store_b128 v142, v[0:3] offset:1760
	ds_store_b128 v10, v[15:18] offset:24640
	ds_load_b128 v[0:3], v142 offset:3520
	ds_load_b128 v[6:9], v10 offset:22880
	global_load_b128 v[15:18], v[23:24], off offset:2944
	s_waitcnt lgkmcnt(0)
	v_add_f64 v[23:24], v[0:1], v[6:7]
	v_add_f64 v[25:26], v[8:9], v[2:3]
	v_add_f64 v[27:28], v[0:1], -v[6:7]
	v_add_f64 v[0:1], v[2:3], -v[8:9]
	s_waitcnt vmcnt(2)
	s_delay_alu instid0(VALU_DEP_2) | instskip(NEXT) | instid1(VALU_DEP_2)
	v_fma_f64 v[2:3], v[27:28], v[13:14], v[23:24]
	v_fma_f64 v[6:7], v[25:26], v[13:14], v[0:1]
	v_fma_f64 v[8:9], -v[27:28], v[13:14], v[23:24]
	v_fma_f64 v[13:14], v[25:26], v[13:14], -v[0:1]
	v_add_co_u32 v23, s0, 0x2000, v4
	s_delay_alu instid0(VALU_DEP_1)
	v_add_co_ci_u32_e64 v24, s0, 0, v5, s0
	v_cmp_gt_u32_e64 s0, 55, v66
	v_fma_f64 v[0:1], -v[25:26], v[11:12], v[2:3]
	v_fma_f64 v[2:3], v[27:28], v[11:12], v[6:7]
	v_fma_f64 v[6:7], v[25:26], v[11:12], v[8:9]
	;; [unrolled: 1-line block ×3, first 2 shown]
	ds_store_b128 v142, v[0:3] offset:3520
	ds_store_b128 v10, v[6:9] offset:22880
	ds_load_b128 v[0:3], v142 offset:5280
	ds_load_b128 v[6:9], v10 offset:21120
	global_load_b128 v[11:14], v[23:24], off offset:608
	s_waitcnt lgkmcnt(0)
	v_add_f64 v[25:26], v[0:1], v[6:7]
	v_add_f64 v[27:28], v[8:9], v[2:3]
	v_add_f64 v[29:30], v[0:1], -v[6:7]
	v_add_f64 v[0:1], v[2:3], -v[8:9]
	s_waitcnt vmcnt(2)
	s_delay_alu instid0(VALU_DEP_2) | instskip(NEXT) | instid1(VALU_DEP_2)
	v_fma_f64 v[2:3], v[29:30], v[21:22], v[25:26]
	v_fma_f64 v[6:7], v[27:28], v[21:22], v[0:1]
	v_fma_f64 v[8:9], -v[29:30], v[21:22], v[25:26]
	v_fma_f64 v[21:22], v[27:28], v[21:22], -v[0:1]
	s_delay_alu instid0(VALU_DEP_4) | instskip(NEXT) | instid1(VALU_DEP_4)
	v_fma_f64 v[0:1], -v[27:28], v[19:20], v[2:3]
	v_fma_f64 v[2:3], v[29:30], v[19:20], v[6:7]
	s_delay_alu instid0(VALU_DEP_4) | instskip(NEXT) | instid1(VALU_DEP_4)
	v_fma_f64 v[6:7], v[27:28], v[19:20], v[8:9]
	v_fma_f64 v[8:9], v[29:30], v[19:20], v[21:22]
	ds_store_b128 v142, v[0:3] offset:5280
	ds_store_b128 v10, v[6:9] offset:21120
	ds_load_b128 v[0:3], v142 offset:7040
	ds_load_b128 v[6:9], v10 offset:19360
	global_load_b128 v[19:22], v[23:24], off offset:2368
	s_waitcnt lgkmcnt(0)
	v_add_f64 v[23:24], v[0:1], v[6:7]
	v_add_f64 v[25:26], v[8:9], v[2:3]
	v_add_f64 v[27:28], v[0:1], -v[6:7]
	v_add_f64 v[0:1], v[2:3], -v[8:9]
	s_waitcnt vmcnt(2)
	s_delay_alu instid0(VALU_DEP_2) | instskip(NEXT) | instid1(VALU_DEP_2)
	v_fma_f64 v[2:3], v[27:28], v[17:18], v[23:24]
	v_fma_f64 v[6:7], v[25:26], v[17:18], v[0:1]
	v_fma_f64 v[8:9], -v[27:28], v[17:18], v[23:24]
	v_fma_f64 v[17:18], v[25:26], v[17:18], -v[0:1]
	s_delay_alu instid0(VALU_DEP_4) | instskip(NEXT) | instid1(VALU_DEP_4)
	v_fma_f64 v[0:1], -v[25:26], v[15:16], v[2:3]
	v_fma_f64 v[2:3], v[27:28], v[15:16], v[6:7]
	s_delay_alu instid0(VALU_DEP_4) | instskip(NEXT) | instid1(VALU_DEP_4)
	v_fma_f64 v[6:7], v[25:26], v[15:16], v[8:9]
	v_fma_f64 v[8:9], v[27:28], v[15:16], v[17:18]
	ds_store_b128 v142, v[0:3] offset:7040
	ds_store_b128 v10, v[6:9] offset:19360
	ds_load_b128 v[0:3], v142 offset:8800
	ds_load_b128 v[6:9], v10 offset:17600
	s_waitcnt lgkmcnt(0)
	v_add_f64 v[15:16], v[0:1], v[6:7]
	v_add_f64 v[17:18], v[8:9], v[2:3]
	v_add_f64 v[23:24], v[0:1], -v[6:7]
	v_add_f64 v[0:1], v[2:3], -v[8:9]
	s_waitcnt vmcnt(1)
	s_delay_alu instid0(VALU_DEP_2) | instskip(NEXT) | instid1(VALU_DEP_2)
	v_fma_f64 v[2:3], v[23:24], v[13:14], v[15:16]
	v_fma_f64 v[6:7], v[17:18], v[13:14], v[0:1]
	v_fma_f64 v[8:9], -v[23:24], v[13:14], v[15:16]
	v_fma_f64 v[13:14], v[17:18], v[13:14], -v[0:1]
	s_delay_alu instid0(VALU_DEP_4) | instskip(NEXT) | instid1(VALU_DEP_4)
	v_fma_f64 v[0:1], -v[17:18], v[11:12], v[2:3]
	v_fma_f64 v[2:3], v[23:24], v[11:12], v[6:7]
	s_delay_alu instid0(VALU_DEP_4) | instskip(NEXT) | instid1(VALU_DEP_4)
	v_fma_f64 v[6:7], v[17:18], v[11:12], v[8:9]
	v_fma_f64 v[8:9], v[23:24], v[11:12], v[13:14]
	ds_store_b128 v142, v[0:3] offset:8800
	ds_store_b128 v10, v[6:9] offset:17600
	ds_load_b128 v[0:3], v142 offset:10560
	ds_load_b128 v[6:9], v10 offset:15840
	s_waitcnt lgkmcnt(0)
	v_add_f64 v[11:12], v[0:1], v[6:7]
	v_add_f64 v[13:14], v[8:9], v[2:3]
	v_add_f64 v[15:16], v[0:1], -v[6:7]
	v_add_f64 v[0:1], v[2:3], -v[8:9]
	s_waitcnt vmcnt(0)
	s_delay_alu instid0(VALU_DEP_2) | instskip(NEXT) | instid1(VALU_DEP_2)
	v_fma_f64 v[2:3], v[15:16], v[21:22], v[11:12]
	v_fma_f64 v[6:7], v[13:14], v[21:22], v[0:1]
	v_fma_f64 v[8:9], -v[15:16], v[21:22], v[11:12]
	v_fma_f64 v[11:12], v[13:14], v[21:22], -v[0:1]
	s_delay_alu instid0(VALU_DEP_4) | instskip(NEXT) | instid1(VALU_DEP_4)
	v_fma_f64 v[0:1], -v[13:14], v[19:20], v[2:3]
	v_fma_f64 v[2:3], v[15:16], v[19:20], v[6:7]
	s_delay_alu instid0(VALU_DEP_4) | instskip(NEXT) | instid1(VALU_DEP_4)
	v_fma_f64 v[6:7], v[13:14], v[19:20], v[8:9]
	v_fma_f64 v[8:9], v[15:16], v[19:20], v[11:12]
	ds_store_b128 v142, v[0:3] offset:10560
	ds_store_b128 v10, v[6:9] offset:15840
	s_and_saveexec_b32 s4, s0
	s_cbranch_execz .LBB0_21
; %bb.20:
	v_add_co_u32 v0, s1, 0x3000, v4
	s_delay_alu instid0(VALU_DEP_1)
	v_add_co_ci_u32_e64 v1, s1, 0, v5, s1
	global_load_b128 v[0:3], v[0:1], off offset:32
	ds_load_b128 v[4:7], v142 offset:12320
	ds_load_b128 v[11:14], v10 offset:14080
	s_waitcnt lgkmcnt(0)
	v_add_f64 v[8:9], v[4:5], v[11:12]
	v_add_f64 v[15:16], v[13:14], v[6:7]
	v_add_f64 v[11:12], v[4:5], -v[11:12]
	v_add_f64 v[4:5], v[6:7], -v[13:14]
	s_waitcnt vmcnt(0)
	s_delay_alu instid0(VALU_DEP_2) | instskip(NEXT) | instid1(VALU_DEP_2)
	v_fma_f64 v[6:7], v[11:12], v[2:3], v[8:9]
	v_fma_f64 v[13:14], v[15:16], v[2:3], v[4:5]
	v_fma_f64 v[8:9], -v[11:12], v[2:3], v[8:9]
	v_fma_f64 v[17:18], v[15:16], v[2:3], -v[4:5]
	s_delay_alu instid0(VALU_DEP_4) | instskip(NEXT) | instid1(VALU_DEP_4)
	v_fma_f64 v[2:3], -v[15:16], v[0:1], v[6:7]
	v_fma_f64 v[4:5], v[11:12], v[0:1], v[13:14]
	s_delay_alu instid0(VALU_DEP_4) | instskip(NEXT) | instid1(VALU_DEP_4)
	v_fma_f64 v[6:7], v[15:16], v[0:1], v[8:9]
	v_fma_f64 v[8:9], v[11:12], v[0:1], v[17:18]
	ds_store_b128 v142, v[2:5] offset:12320
	ds_store_b128 v10, v[6:9] offset:14080
.LBB0_21:
	s_or_b32 exec_lo, exec_lo, s4
	s_waitcnt lgkmcnt(0)
	s_barrier
	buffer_gl0_inv
	s_barrier
	buffer_gl0_inv
	ds_load_b128 v[32:35], v142 offset:2400
	ds_load_b128 v[28:31], v142
	ds_load_b128 v[0:3], v142 offset:1760
	ds_load_b128 v[4:7], v142 offset:4160
	;; [unrolled: 1-line block ×8, first 2 shown]
	s_mov_b32 s34, 0xf8bb580b
	s_mov_b32 s4, 0x8764f0ba
	;; [unrolled: 1-line block ×14, first 2 shown]
	s_waitcnt lgkmcnt(8)
	v_add_f64 v[8:9], v[28:29], v[32:33]
	v_add_f64 v[10:11], v[30:31], v[34:35]
	s_mov_b32 s27, 0x3fed1bb4
	s_mov_b32 s26, s30
	;; [unrolled: 1-line block ×16, first 2 shown]
	v_mad_u32_u24 v67, 0xb0, v66, 0
	s_mov_b32 s33, exec_lo
	s_waitcnt lgkmcnt(5)
	s_delay_alu instid0(VALU_DEP_3) | instskip(NEXT) | instid1(VALU_DEP_3)
	v_add_f64 v[8:9], v[8:9], v[36:37]
	v_add_f64 v[10:11], v[10:11], v[38:39]
	s_waitcnt lgkmcnt(3)
	s_delay_alu instid0(VALU_DEP_2) | instskip(NEXT) | instid1(VALU_DEP_2)
	v_add_f64 v[8:9], v[8:9], v[52:53]
	v_add_f64 v[10:11], v[10:11], v[54:55]
	s_waitcnt lgkmcnt(1)
	s_delay_alu instid0(VALU_DEP_2) | instskip(NEXT) | instid1(VALU_DEP_2)
	v_add_f64 v[16:17], v[8:9], v[70:71]
	v_add_f64 v[18:19], v[10:11], v[72:73]
	ds_load_b128 v[82:85], v142 offset:24000
	ds_load_b128 v[86:89], v142 offset:12000
	;; [unrolled: 1-line block ×4, first 2 shown]
	s_waitcnt lgkmcnt(3)
	v_add_f64 v[102:103], v[34:35], -v[84:85]
	v_add_f64 v[104:105], v[34:35], v[84:85]
	v_add_f64 v[112:113], v[32:33], v[82:83]
	v_add_f64 v[114:115], v[32:33], -v[82:83]
	s_waitcnt lgkmcnt(2)
	v_add_f64 v[34:35], v[16:17], v[86:87]
	v_add_f64 v[48:49], v[18:19], v[88:89]
	ds_load_b128 v[90:93], v142 offset:21600
	ds_load_b128 v[94:97], v142 offset:14400
	;; [unrolled: 1-line block ×4, first 2 shown]
	s_waitcnt lgkmcnt(3)
	v_add_f64 v[108:109], v[38:39], v[92:93]
	v_add_f64 v[110:111], v[38:39], -v[92:93]
	v_mul_f64 v[78:79], v[102:103], s[34:35]
	v_mul_f64 v[106:107], v[104:105], s[4:5]
	v_add_f64 v[38:39], v[36:37], v[90:91]
	v_add_f64 v[36:37], v[36:37], -v[90:91]
	v_mul_f64 v[132:133], v[102:103], s[30:31]
	v_mul_f64 v[134:135], v[104:105], s[10:11]
	;; [unrolled: 1-line block ×5, first 2 shown]
	s_waitcnt lgkmcnt(2)
	v_add_f64 v[58:59], v[34:35], v[94:95]
	v_add_f64 v[60:61], v[48:49], v[96:97]
	ds_load_b128 v[74:77], v142 offset:19200
	ds_load_b128 v[98:101], v142 offset:16800
	;; [unrolled: 1-line block ×4, first 2 shown]
	s_waitcnt lgkmcnt(0)
	s_barrier
	buffer_gl0_inv
	v_add_f64 v[56:57], v[54:55], v[76:77]
	v_add_f64 v[116:117], v[54:55], -v[76:77]
	v_mul_f64 v[54:55], v[110:111], s[30:31]
	v_fma_f64 v[118:119], v[112:113], s[4:5], v[78:79]
	v_mul_f64 v[120:121], v[108:109], s[10:11]
	v_fma_f64 v[122:123], v[114:115], s[12:13], v[106:107]
	v_add_f64 v[62:63], v[72:73], v[100:101]
	v_add_f64 v[80:81], v[72:73], -v[100:101]
	v_fma_f64 v[136:137], v[112:113], s[4:5], -v[78:79]
	v_fma_f64 v[138:139], v[114:115], s[34:35], v[106:107]
	v_add_f64 v[78:79], v[88:89], -v[96:97]
	v_add_f64 v[72:73], v[70:71], v[98:99]
	v_mul_f64 v[147:148], v[110:111], s[24:25]
	v_add_f64 v[106:107], v[86:87], -v[94:95]
	v_mul_f64 v[153:154], v[110:111], s[36:37]
	v_mul_f64 v[155:156], v[108:109], s[16:17]
	v_fma_f64 v[161:162], v[112:113], s[18:19], v[140:141]
	v_fma_f64 v[140:141], v[112:113], s[18:19], -v[140:141]
	v_add_f64 v[124:125], v[58:59], v[98:99]
	v_add_f64 v[126:127], v[60:61], v[100:101]
	;; [unrolled: 1-line block ×3, first 2 shown]
	v_add_f64 v[58:59], v[52:53], -v[74:75]
	v_fma_f64 v[163:164], v[114:115], s[38:39], v[143:144]
	v_fma_f64 v[165:166], v[112:113], s[16:17], v[145:146]
	;; [unrolled: 1-line block ×3, first 2 shown]
	v_mul_f64 v[128:129], v[56:57], s[14:15]
	v_mul_f64 v[100:101], v[116:117], s[22:23]
	v_fma_f64 v[52:53], v[38:39], s[10:11], v[54:55]
	v_add_f64 v[118:119], v[28:29], v[118:119]
	v_fma_f64 v[130:131], v[36:37], s[26:27], v[120:121]
	v_add_f64 v[122:123], v[30:31], v[122:123]
	v_fma_f64 v[151:152], v[38:39], s[10:11], -v[54:55]
	v_mul_f64 v[171:172], v[80:81], s[20:21]
	v_add_f64 v[136:137], v[28:29], v[136:137]
	v_fma_f64 v[169:170], v[38:39], s[18:19], v[147:148]
	v_add_f64 v[140:141], v[28:29], v[140:141]
	v_add_f64 v[124:125], v[124:125], v[74:75]
	;; [unrolled: 1-line block ×4, first 2 shown]
	v_mul_f64 v[88:89], v[102:103], s[22:23]
	v_mul_f64 v[96:97], v[104:105], s[14:15]
	v_add_f64 v[74:75], v[70:71], -v[98:99]
	v_mul_f64 v[70:71], v[104:105], s[16:17]
	v_mul_f64 v[98:99], v[80:81], s[24:25]
	;; [unrolled: 1-line block ×3, first 2 shown]
	v_add_f64 v[102:103], v[86:87], v[94:95]
	v_fma_f64 v[86:87], v[36:37], s[30:31], v[120:121]
	v_add_f64 v[94:95], v[30:31], v[138:139]
	v_mul_f64 v[120:121], v[78:79], s[20:21]
	v_fma_f64 v[149:150], v[60:61], s[14:15], v[100:101]
	v_fma_f64 v[100:101], v[60:61], s[14:15], -v[100:101]
	v_add_f64 v[52:53], v[52:53], v[118:119]
	v_fma_f64 v[118:119], v[58:59], s[28:29], v[128:129]
	v_add_f64 v[122:123], v[130:131], v[122:123]
	v_fma_f64 v[130:131], v[112:113], s[10:11], v[132:133]
	v_fma_f64 v[132:133], v[112:113], s[10:11], -v[132:133]
	v_fma_f64 v[128:129], v[58:59], s[22:23], v[128:129]
	v_add_f64 v[90:91], v[124:125], v[90:91]
	v_add_f64 v[92:93], v[126:127], v[92:93]
	v_mul_f64 v[124:125], v[108:109], s[18:19]
	v_fma_f64 v[126:127], v[114:115], s[26:27], v[134:135]
	v_fma_f64 v[134:135], v[114:115], s[30:31], v[134:135]
	v_mul_f64 v[138:139], v[76:77], s[16:17]
	v_fma_f64 v[157:158], v[112:113], s[14:15], v[88:89]
	v_fma_f64 v[88:89], v[112:113], s[14:15], -v[88:89]
	v_fma_f64 v[159:160], v[114:115], s[28:29], v[96:97]
	v_fma_f64 v[96:97], v[114:115], s[22:23], v[96:97]
	v_fma_f64 v[112:113], v[112:113], s[16:17], -v[145:146]
	v_fma_f64 v[145:146], v[114:115], s[36:37], v[70:71]
	v_fma_f64 v[70:71], v[114:115], s[20:21], v[70:71]
	;; [unrolled: 1-line block ×4, first 2 shown]
	v_add_f64 v[86:87], v[86:87], v[94:95]
	v_mul_f64 v[94:95], v[80:81], s[28:29]
	v_fma_f64 v[98:99], v[72:73], s[18:19], -v[98:99]
	v_fma_f64 v[104:105], v[74:75], s[24:25], v[104:105]
	v_mul_f64 v[181:182], v[76:77], s[14:15]
	v_add_f64 v[149:150], v[149:150], v[52:53]
	v_add_f64 v[118:119], v[118:119], v[122:123]
	;; [unrolled: 1-line block ×6, first 2 shown]
	v_fma_f64 v[82:83], v[36:37], s[38:39], v[124:125]
	v_add_f64 v[84:85], v[30:31], v[126:127]
	v_mul_f64 v[90:91], v[116:117], s[36:37]
	v_mul_f64 v[92:93], v[56:57], s[16:17]
	v_fma_f64 v[126:127], v[38:39], s[18:19], -v[147:148]
	v_fma_f64 v[124:125], v[36:37], s[24:25], v[124:125]
	v_add_f64 v[132:133], v[30:31], v[134:135]
	v_add_f64 v[134:135], v[151:152], v[136:137]
	v_mul_f64 v[136:137], v[116:117], s[26:27]
	v_add_f64 v[147:148], v[28:29], v[157:158]
	v_add_f64 v[151:152], v[30:31], v[159:160]
	;; [unrolled: 1-line block ×11, first 2 shown]
	v_fma_f64 v[70:71], v[102:103], s[16:17], v[120:121]
	v_fma_f64 v[112:113], v[106:107], s[36:37], v[138:139]
	v_add_f64 v[114:115], v[114:115], v[149:150]
	v_add_f64 v[118:119], v[167:168], v[118:119]
	v_mul_f64 v[149:150], v[110:111], s[28:29]
	v_fma_f64 v[167:168], v[38:39], s[16:17], v[153:154]
	v_add_f64 v[122:123], v[169:170], v[122:123]
	v_fma_f64 v[169:170], v[36:37], s[20:21], v[155:156]
	v_fma_f64 v[153:154], v[38:39], s[16:17], -v[153:154]
	v_fma_f64 v[155:156], v[36:37], s[36:37], v[155:156]
	v_add_f64 v[86:87], v[128:129], v[86:87]
	v_mul_f64 v[128:129], v[56:57], s[10:11]
	v_mul_f64 v[110:111], v[110:111], s[12:13]
	v_fma_f64 v[120:121], v[102:103], s[16:17], -v[120:121]
	v_fma_f64 v[138:139], v[106:107], s[20:21], v[138:139]
	v_add_f64 v[82:83], v[82:83], v[84:85]
	v_mul_f64 v[84:85], v[108:109], s[14:15]
	v_mul_f64 v[108:109], v[108:109], s[4:5]
	v_add_f64 v[126:127], v[126:127], v[130:131]
	v_fma_f64 v[130:131], v[60:61], s[16:17], v[90:91]
	v_add_f64 v[124:125], v[124:125], v[132:133]
	v_fma_f64 v[132:133], v[58:59], s[20:21], v[92:93]
	v_add_f64 v[100:101], v[100:101], v[134:135]
	v_mul_f64 v[134:135], v[62:63], s[14:15]
	v_fma_f64 v[90:91], v[60:61], s[16:17], -v[90:91]
	v_fma_f64 v[92:93], v[58:59], s[36:37], v[92:93]
	v_add_f64 v[143:144], v[70:71], v[114:115]
	v_add_f64 v[145:146], v[112:113], v[118:119]
	v_mul_f64 v[70:71], v[78:79], s[12:13]
	v_mul_f64 v[112:113], v[76:77], s[4:5]
	v_add_f64 v[114:115], v[167:168], v[147:148]
	v_mul_f64 v[118:119], v[80:81], s[34:35]
	v_add_f64 v[147:148], v[169:170], v[151:152]
	v_fma_f64 v[151:152], v[38:39], s[14:15], v[149:150]
	v_add_f64 v[88:89], v[153:154], v[88:89]
	v_mul_f64 v[153:154], v[116:117], s[34:35]
	v_add_f64 v[96:97], v[155:156], v[96:97]
	v_add_f64 v[86:87], v[104:105], v[86:87]
	v_mul_f64 v[104:105], v[56:57], s[4:5]
	v_fma_f64 v[149:150], v[38:39], s[14:15], -v[149:150]
	v_mul_f64 v[167:168], v[78:79], s[24:25]
	v_mul_f64 v[116:117], v[116:117], s[24:25]
	v_fma_f64 v[175:176], v[38:39], s[4:5], v[110:111]
	v_mul_f64 v[80:81], v[80:81], s[26:27]
	v_fma_f64 v[155:156], v[36:37], s[22:23], v[84:85]
	v_fma_f64 v[84:85], v[36:37], s[28:29], v[84:85]
	v_fma_f64 v[38:39], v[38:39], s[4:5], -v[110:111]
	v_add_f64 v[122:123], v[130:131], v[122:123]
	v_fma_f64 v[130:131], v[60:61], s[10:11], v[136:137]
	v_add_f64 v[82:83], v[132:133], v[82:83]
	v_fma_f64 v[132:133], v[72:73], s[14:15], v[94:95]
	v_fma_f64 v[136:137], v[60:61], s[10:11], -v[136:137]
	v_add_f64 v[90:91], v[90:91], v[126:127]
	v_fma_f64 v[126:127], v[74:75], s[22:23], v[134:135]
	v_add_f64 v[92:93], v[92:93], v[124:125]
	v_fma_f64 v[124:125], v[58:59], s[30:31], v[128:129]
	v_add_f64 v[98:99], v[98:99], v[100:101]
	v_mul_f64 v[100:101], v[62:63], s[4:5]
	v_fma_f64 v[128:129], v[58:59], s[26:27], v[128:129]
	v_fma_f64 v[94:95], v[72:73], s[14:15], -v[94:95]
	v_fma_f64 v[134:135], v[74:75], s[28:29], v[134:135]
	v_add_f64 v[157:158], v[151:152], v[157:158]
	v_fma_f64 v[173:174], v[60:61], s[4:5], v[153:154]
	v_fma_f64 v[177:178], v[60:61], s[4:5], -v[153:154]
	v_add_f64 v[140:141], v[149:150], v[140:141]
	v_add_f64 v[149:150], v[138:139], v[86:87]
	v_fma_f64 v[86:87], v[36:37], s[34:35], v[108:109]
	v_fma_f64 v[36:37], v[36:37], s[12:13], v[108:109]
	v_add_f64 v[155:156], v[155:156], v[159:160]
	v_mul_f64 v[159:160], v[76:77], s[18:19]
	v_add_f64 v[84:85], v[84:85], v[161:162]
	v_add_f64 v[28:29], v[38:39], v[28:29]
	;; [unrolled: 1-line block ×3, first 2 shown]
	v_fma_f64 v[114:115], v[102:103], s[4:5], v[70:71]
	v_add_f64 v[122:123], v[132:133], v[122:123]
	v_fma_f64 v[132:133], v[106:107], s[34:35], v[112:113]
	v_add_f64 v[88:89], v[136:137], v[88:89]
	v_add_f64 v[82:83], v[126:127], v[82:83]
	v_fma_f64 v[136:137], v[72:73], s[4:5], v[118:119]
	v_add_f64 v[124:125], v[124:125], v[147:148]
	v_fma_f64 v[118:119], v[72:73], s[4:5], -v[118:119]
	v_fma_f64 v[70:71], v[102:103], s[4:5], -v[70:71]
	v_add_f64 v[96:97], v[128:129], v[96:97]
	v_fma_f64 v[128:129], v[74:75], s[12:13], v[100:101]
	v_add_f64 v[90:91], v[94:95], v[90:91]
	v_fma_f64 v[94:95], v[58:59], s[12:13], v[104:105]
	;; [unrolled: 2-line block ×3, first 2 shown]
	v_fma_f64 v[112:113], v[106:107], s[12:13], v[112:113]
	v_add_f64 v[126:127], v[6:7], -v[10:11]
	v_add_f64 v[130:131], v[4:5], -v[8:9]
	v_mul_f64 v[134:135], v[62:63], s[16:17]
	v_fma_f64 v[104:105], v[58:59], s[34:35], v[104:105]
	v_add_f64 v[147:148], v[120:121], v[98:99]
	v_mul_f64 v[98:99], v[56:57], s[18:19]
	v_add_f64 v[56:57], v[4:5], v[8:9]
	v_add_f64 v[120:121], v[173:174], v[157:158]
	v_fma_f64 v[173:174], v[72:73], s[16:17], v[171:172]
	v_fma_f64 v[171:172], v[72:73], s[16:17], -v[171:172]
	v_add_f64 v[140:141], v[177:178], v[140:141]
	v_mul_f64 v[177:178], v[62:63], s[10:11]
	v_add_f64 v[86:87], v[86:87], v[165:166]
	v_add_f64 v[62:63], v[20:21], v[16:17]
	;; [unrolled: 1-line block ×3, first 2 shown]
	v_fma_f64 v[138:139], v[106:107], s[38:39], v[159:160]
	v_fma_f64 v[179:180], v[106:107], s[24:25], v[159:160]
	v_add_f64 v[151:152], v[114:115], v[122:123]
	v_add_f64 v[114:115], v[22:23], -v[18:19]
	v_mul_f64 v[122:123], v[78:79], s[26:27]
	v_add_f64 v[153:154], v[132:133], v[82:83]
	v_add_f64 v[132:133], v[136:137], v[169:170]
	v_fma_f64 v[136:137], v[102:103], s[18:19], v[167:168]
	v_add_f64 v[88:89], v[118:119], v[88:89]
	v_fma_f64 v[167:168], v[102:103], s[18:19], -v[167:168]
	v_add_f64 v[128:129], v[128:129], v[124:125]
	v_add_f64 v[124:125], v[20:21], -v[16:17]
	v_add_f64 v[169:170], v[94:95], v[155:156]
	v_add_f64 v[155:156], v[70:71], v[90:91]
	;; [unrolled: 1-line block ×5, first 2 shown]
	v_fma_f64 v[92:93], v[60:61], s[18:19], v[116:117]
	v_add_f64 v[112:113], v[175:176], v[163:164]
	v_mul_f64 v[82:83], v[126:127], s[22:23]
	v_mul_f64 v[94:95], v[130:131], s[22:23]
	v_fma_f64 v[118:119], v[74:75], s[36:37], v[134:135]
	v_mul_f64 v[100:101], v[76:77], s[10:11]
	v_fma_f64 v[134:135], v[74:75], s[20:21], v[134:135]
	v_add_f64 v[84:85], v[104:105], v[84:85]
	v_fma_f64 v[175:176], v[58:59], s[38:39], v[98:99]
	v_add_f64 v[90:91], v[22:23], v[18:19]
	v_add_f64 v[76:77], v[24:25], v[32:33]
	;; [unrolled: 1-line block ×3, first 2 shown]
	v_fma_f64 v[60:61], v[60:61], s[18:19], -v[116:117]
	v_fma_f64 v[58:59], v[58:59], s[24:25], v[98:99]
	v_add_f64 v[116:117], v[14:15], -v[50:51]
	v_add_f64 v[120:121], v[173:174], v[120:121]
	v_mul_f64 v[104:105], v[114:115], s[36:37]
	v_add_f64 v[159:160], v[136:137], v[132:133]
	v_add_f64 v[136:137], v[24:25], -v[32:33]
	v_add_f64 v[163:164], v[167:168], v[88:89]
	v_fma_f64 v[132:133], v[102:103], s[10:11], v[122:123]
	v_add_f64 v[161:162], v[138:139], v[128:129]
	v_add_f64 v[128:129], v[26:27], -v[34:35]
	v_mul_f64 v[108:109], v[124:125], s[36:37]
	v_fma_f64 v[122:123], v[102:103], s[10:11], -v[122:123]
	v_add_f64 v[165:166], v[179:180], v[96:97]
	v_mul_f64 v[179:180], v[78:79], s[22:23]
	v_fma_f64 v[78:79], v[72:73], s[10:11], v[80:81]
	v_fma_f64 v[72:73], v[72:73], s[10:11], -v[80:81]
	v_add_f64 v[88:89], v[92:93], v[112:113]
	v_fma_f64 v[112:113], v[56:57], s[14:15], v[82:83]
	v_fma_f64 v[140:141], v[70:71], s[14:15], -v[94:95]
	v_add_f64 v[118:119], v[118:119], v[169:170]
	v_fma_f64 v[138:139], v[106:107], s[30:31], v[100:101]
	v_fma_f64 v[100:101], v[106:107], s[26:27], v[100:101]
	v_add_f64 v[134:135], v[134:135], v[84:85]
	v_add_f64 v[86:87], v[175:176], v[86:87]
	v_fma_f64 v[175:176], v[74:75], s[30:31], v[177:178]
	v_add_f64 v[84:85], v[26:27], v[34:35]
	v_fma_f64 v[74:75], v[74:75], s[26:27], v[177:178]
	v_add_f64 v[28:29], v[60:61], v[28:29]
	v_add_f64 v[30:31], v[58:59], v[30:31]
	;; [unrolled: 1-line block ×3, first 2 shown]
	v_fma_f64 v[38:39], v[62:63], s[16:17], v[104:105]
	v_mul_f64 v[96:97], v[136:137], s[26:27]
	v_add_f64 v[167:168], v[132:133], v[120:121]
	v_mul_f64 v[132:133], v[114:115], s[28:29]
	v_mul_f64 v[92:93], v[128:129], s[26:27]
	;; [unrolled: 1-line block ×3, first 2 shown]
	v_add_f64 v[171:172], v[122:123], v[110:111]
	v_fma_f64 v[110:111], v[106:107], s[28:29], v[181:182]
	v_fma_f64 v[98:99], v[102:103], s[14:15], v[179:180]
	v_fma_f64 v[102:103], v[102:103], s[14:15], -v[179:180]
	v_fma_f64 v[106:107], v[106:107], s[22:23], v[181:182]
	v_add_f64 v[78:79], v[78:79], v[88:89]
	v_add_f64 v[36:37], v[0:1], v[112:113]
	v_fma_f64 v[88:89], v[90:91], s[16:17], -v[108:109]
	v_add_f64 v[112:113], v[2:3], v[140:141]
	v_add_f64 v[169:170], v[138:139], v[118:119]
	v_add_f64 v[118:119], v[12:13], -v[48:49]
	v_add_f64 v[173:174], v[100:101], v[134:135]
	v_mul_f64 v[138:139], v[126:127], s[24:25]
	v_add_f64 v[100:101], v[175:176], v[86:87]
	v_mul_f64 v[86:87], v[116:117], s[34:35]
	v_mul_f64 v[140:141], v[130:131], s[24:25]
	v_add_f64 v[28:29], v[72:73], v[28:29]
	v_add_f64 v[30:31], v[74:75], v[30:31]
	v_mul_f64 v[134:135], v[124:125], s[28:29]
	v_mul_f64 v[122:123], v[136:137], s[34:35]
	v_fma_f64 v[60:61], v[84:85], s[10:11], -v[96:97]
	v_add_f64 v[175:176], v[98:99], v[78:79]
	v_add_f64 v[36:37], v[38:39], v[36:37]
	v_fma_f64 v[38:39], v[76:77], s[10:11], v[92:93]
	v_add_f64 v[58:59], v[88:89], v[112:113]
	v_add_f64 v[78:79], v[12:13], v[48:49]
	v_add_f64 v[98:99], v[46:47], -v[42:43]
	v_mul_f64 v[88:89], v[118:119], s[34:35]
	v_add_f64 v[177:178], v[110:111], v[100:101]
	v_add_f64 v[100:101], v[44:45], -v[40:41]
	v_add_f64 v[179:180], v[102:103], v[28:29]
	v_add_f64 v[181:182], v[106:107], v[30:31]
	v_fma_f64 v[102:103], v[90:91], s[14:15], -v[134:135]
	ds_store_b128 v67, v[151:154] offset:32
	ds_store_b128 v67, v[159:162] offset:48
	;; [unrolled: 1-line block ×9, first 2 shown]
	ds_store_b128 v67, v[52:55]
	ds_store_b128 v67, v[143:146] offset:16
	v_add_f64 v[36:37], v[38:39], v[36:37]
	v_add_f64 v[38:39], v[60:61], v[58:59]
	v_fma_f64 v[110:111], v[78:79], s[4:5], v[86:87]
	v_add_f64 v[58:59], v[44:45], v[40:41]
	v_mul_f64 v[72:73], v[98:99], s[24:25]
	v_fma_f64 v[112:113], v[80:81], s[4:5], -v[88:89]
	v_add_f64 v[60:61], v[46:47], v[42:43]
	v_mul_f64 v[74:75], v[100:101], s[24:25]
	v_add_f64 v[28:29], v[110:111], v[36:37]
	v_mul_f64 v[110:111], v[116:117], s[20:21]
	v_fma_f64 v[36:37], v[58:59], s[18:19], v[72:73]
	v_add_f64 v[30:31], v[112:113], v[38:39]
	v_mul_f64 v[112:113], v[118:119], s[20:21]
	v_fma_f64 v[38:39], v[60:61], s[18:19], -v[74:75]
	s_delay_alu instid0(VALU_DEP_4) | instskip(SKIP_1) | instid1(VALU_DEP_3)
	v_add_f64 v[28:29], v[36:37], v[28:29]
	v_fma_f64 v[36:37], v[56:57], s[18:19], v[138:139]
	v_add_f64 v[30:31], v[38:39], v[30:31]
	v_fma_f64 v[38:39], v[62:63], s[14:15], v[132:133]
	s_delay_alu instid0(VALU_DEP_3) | instskip(NEXT) | instid1(VALU_DEP_1)
	v_add_f64 v[36:37], v[0:1], v[36:37]
	v_add_f64 v[36:37], v[38:39], v[36:37]
	v_fma_f64 v[38:39], v[70:71], s[18:19], -v[140:141]
	s_delay_alu instid0(VALU_DEP_1) | instskip(NEXT) | instid1(VALU_DEP_1)
	v_add_f64 v[38:39], v[2:3], v[38:39]
	v_add_f64 v[38:39], v[102:103], v[38:39]
	v_fma_f64 v[102:103], v[76:77], s[4:5], v[120:121]
	s_delay_alu instid0(VALU_DEP_1) | instskip(SKIP_1) | instid1(VALU_DEP_1)
	v_add_f64 v[36:37], v[102:103], v[36:37]
	v_fma_f64 v[102:103], v[84:85], s[4:5], -v[122:123]
	v_add_f64 v[38:39], v[102:103], v[38:39]
	v_fma_f64 v[102:103], v[78:79], s[16:17], v[110:111]
	s_delay_alu instid0(VALU_DEP_1) | instskip(SKIP_1) | instid1(VALU_DEP_1)
	v_add_f64 v[36:37], v[102:103], v[36:37]
	v_fma_f64 v[102:103], v[80:81], s[16:17], -v[112:113]
	v_add_f64 v[38:39], v[102:103], v[38:39]
	v_mul_f64 v[102:103], v[98:99], s[26:27]
	s_delay_alu instid0(VALU_DEP_1) | instskip(NEXT) | instid1(VALU_DEP_1)
	v_fma_f64 v[106:107], v[58:59], s[10:11], v[102:103]
	v_add_f64 v[36:37], v[106:107], v[36:37]
	v_mul_f64 v[106:107], v[100:101], s[26:27]
	s_delay_alu instid0(VALU_DEP_1) | instskip(NEXT) | instid1(VALU_DEP_1)
	v_fma_f64 v[183:184], v[60:61], s[10:11], -v[106:107]
	v_add_f64 v[38:39], v[183:184], v[38:39]
	v_cmpx_gt_u32_e32 40, v66
	s_cbranch_execz .LBB0_23
; %bb.22:
	v_add_f64 v[6:7], v[2:3], v[6:7]
	v_add_f64 v[4:5], v[0:1], v[4:5]
	v_mul_f64 v[52:53], v[70:71], s[14:15]
	v_mul_f64 v[143:144], v[130:131], s[30:31]
	;; [unrolled: 1-line block ×28, first 2 shown]
	v_add_f64 v[6:7], v[6:7], v[22:23]
	v_add_f64 v[4:5], v[4:5], v[20:21]
	v_mul_f64 v[20:21], v[70:71], s[18:19]
	v_mul_f64 v[22:23], v[130:131], s[20:21]
	;; [unrolled: 1-line block ×3, first 2 shown]
	v_add_f64 v[52:53], v[94:95], v[52:53]
	v_fma_f64 v[94:95], v[70:71], s[10:11], -v[143:144]
	v_add_f64 v[54:55], v[54:55], -v[82:83]
	v_fma_f64 v[82:83], v[70:71], s[10:11], v[143:144]
	v_fma_f64 v[143:144], v[56:57], s[10:11], -v[145:146]
	v_add_f64 v[132:133], v[153:154], -v[132:133]
	v_add_f64 v[108:109], v[108:109], v[159:160]
	v_fma_f64 v[153:154], v[90:91], s[18:19], -v[163:164]
	v_fma_f64 v[159:160], v[62:63], s[18:19], v[169:170]
	v_add_f64 v[104:105], v[157:158], -v[104:105]
	v_fma_f64 v[157:158], v[90:91], s[18:19], v[163:164]
	v_fma_f64 v[163:164], v[62:63], s[18:19], -v[169:170]
	v_add_f64 v[122:123], v[122:123], v[147:148]
	v_add_f64 v[120:121], v[151:152], -v[120:121]
	v_add_f64 v[96:97], v[96:97], v[155:156]
	v_fma_f64 v[147:148], v[84:85], s[18:19], v[161:162]
	v_add_f64 v[92:93], v[165:166], -v[92:93]
	v_fma_f64 v[151:152], v[84:85], s[18:19], -v[161:162]
	v_fma_f64 v[155:156], v[84:85], s[16:17], v[167:168]
	v_fma_f64 v[161:162], v[84:85], s[16:17], -v[167:168]
	v_fma_f64 v[165:166], v[84:85], s[14:15], v[136:137]
	v_fma_f64 v[84:85], v[84:85], s[14:15], -v[136:137]
	v_fma_f64 v[136:137], v[76:77], s[18:19], -v[171:172]
	v_fma_f64 v[167:168], v[76:77], s[18:19], v[171:172]
	v_fma_f64 v[171:172], v[76:77], s[16:17], -v[173:174]
	v_fma_f64 v[173:174], v[76:77], s[16:17], v[173:174]
	v_add_f64 v[110:111], v[185:186], -v[110:111]
	v_add_f64 v[88:89], v[88:89], v[183:184]
	v_add_f64 v[86:87], v[175:176], -v[86:87]
	v_add_f64 v[6:7], v[6:7], v[26:27]
	v_add_f64 v[4:5], v[4:5], v[24:25]
	v_mul_f64 v[24:25], v[56:57], s[18:19]
	v_mul_f64 v[26:27], v[126:127], s[20:21]
	;; [unrolled: 1-line block ×3, first 2 shown]
	v_add_f64 v[20:21], v[140:141], v[20:21]
	v_fma_f64 v[140:141], v[70:71], s[16:17], v[22:23]
	v_fma_f64 v[22:23], v[70:71], s[16:17], -v[22:23]
	v_add_f64 v[94:95], v[2:3], v[94:95]
	v_add_f64 v[52:53], v[2:3], v[52:53]
	;; [unrolled: 1-line block ×7, first 2 shown]
	v_mul_f64 v[12:13], v[124:125], s[12:13]
	v_mul_f64 v[14:15], v[114:115], s[12:13]
	v_fma_f64 v[189:190], v[56:57], s[16:17], -v[26:27]
	v_fma_f64 v[26:27], v[56:57], s[16:17], v[26:27]
	v_add_f64 v[24:25], v[24:25], -v[138:139]
	v_fma_f64 v[138:139], v[56:57], s[10:11], v[145:146]
	v_mul_f64 v[124:125], v[124:125], s[30:31]
	v_mul_f64 v[114:115], v[114:115], s[30:31]
	v_fma_f64 v[145:146], v[70:71], s[4:5], v[130:131]
	v_fma_f64 v[70:71], v[70:71], s[4:5], -v[130:131]
	v_fma_f64 v[130:131], v[56:57], s[4:5], v[126:127]
	v_add_f64 v[22:23], v[2:3], v[22:23]
	v_add_f64 v[20:21], v[2:3], v[20:21]
	v_add_f64 v[52:53], v[108:109], v[52:53]
	v_add_f64 v[54:55], v[104:105], v[54:55]
	v_add_f64 v[82:83], v[157:158], v[82:83]
	v_fma_f64 v[108:109], v[78:79], s[10:11], -v[179:180]
	v_add_f64 v[6:7], v[6:7], v[46:47]
	v_add_f64 v[4:5], v[4:5], v[44:45]
	v_fma_f64 v[44:45], v[56:57], s[4:5], -v[126:127]
	v_add_f64 v[126:127], v[134:135], v[149:150]
	v_fma_f64 v[134:135], v[90:91], s[4:5], v[12:13]
	v_fma_f64 v[149:150], v[62:63], s[4:5], -v[14:15]
	v_fma_f64 v[12:13], v[90:91], s[4:5], -v[12:13]
	v_fma_f64 v[14:15], v[62:63], s[4:5], v[14:15]
	v_add_f64 v[26:27], v[0:1], v[26:27]
	v_add_f64 v[24:25], v[0:1], v[24:25]
	;; [unrolled: 1-line block ×3, first 2 shown]
	v_fma_f64 v[169:170], v[90:91], s[10:11], v[124:125]
	v_fma_f64 v[90:91], v[90:91], s[10:11], -v[124:125]
	v_fma_f64 v[124:125], v[62:63], s[10:11], -v[114:115]
	v_fma_f64 v[62:63], v[62:63], s[10:11], v[114:115]
	v_add_f64 v[114:115], v[2:3], v[140:141]
	v_add_f64 v[140:141], v[0:1], v[189:190]
	;; [unrolled: 1-line block ×5, first 2 shown]
	v_mul_f64 v[46:47], v[118:119], s[24:25]
	v_mul_f64 v[56:57], v[116:117], s[24:25]
	v_fma_f64 v[189:190], v[76:77], s[14:15], -v[128:129]
	v_fma_f64 v[76:77], v[76:77], s[14:15], v[128:129]
	v_mul_f64 v[130:131], v[98:99], s[22:23]
	v_mul_f64 v[116:117], v[58:59], s[18:19]
	v_mul_f64 v[118:119], v[60:61], s[18:19]
	v_add_f64 v[52:53], v[96:97], v[52:53]
	v_add_f64 v[54:55], v[92:93], v[54:55]
	;; [unrolled: 1-line block ×7, first 2 shown]
	v_mul_f64 v[44:45], v[100:101], s[22:23]
	v_mul_f64 v[40:41], v[58:59], s[10:11]
	v_add_f64 v[12:13], v[12:13], v[22:23]
	v_fma_f64 v[126:127], v[80:81], s[14:15], v[187:188]
	v_add_f64 v[14:15], v[14:15], v[26:27]
	v_add_f64 v[22:23], v[132:133], v[24:25]
	;; [unrolled: 1-line block ×5, first 2 shown]
	v_fma_f64 v[138:139], v[78:79], s[14:15], v[191:192]
	v_fma_f64 v[132:133], v[78:79], s[14:15], -v[191:192]
	v_add_f64 v[114:115], v[134:135], v[114:115]
	v_add_f64 v[128:129], v[149:150], v[140:141]
	;; [unrolled: 1-line block ×5, first 2 shown]
	v_fma_f64 v[134:135], v[80:81], s[14:15], -v[187:188]
	v_mul_f64 v[70:71], v[100:101], s[20:21]
	v_mul_f64 v[90:91], v[98:99], s[20:21]
	v_fma_f64 v[140:141], v[80:81], s[18:19], v[46:47]
	v_fma_f64 v[46:47], v[80:81], s[18:19], -v[46:47]
	v_mul_f64 v[42:43], v[60:61], s[10:11]
	v_add_f64 v[74:75], v[74:75], v[118:119]
	v_add_f64 v[72:73], v[116:117], -v[72:73]
	v_add_f64 v[52:53], v[88:89], v[52:53]
	v_add_f64 v[54:55], v[86:87], v[54:55]
	;; [unrolled: 1-line block ×5, first 2 shown]
	v_mul_f64 v[48:49], v[100:101], s[12:13]
	v_mul_f64 v[50:51], v[98:99], s[12:13]
	v_add_f64 v[100:101], v[112:113], v[181:182]
	v_fma_f64 v[112:113], v[80:81], s[10:11], -v[177:178]
	v_fma_f64 v[124:125], v[78:79], s[10:11], v[179:180]
	v_add_f64 v[12:13], v[151:152], v[12:13]
	v_add_f64 v[14:15], v[167:168], v[14:15]
	v_add_f64 v[24:25], v[161:162], v[24:25]
	v_add_f64 v[26:27], v[173:174], v[26:27]
	v_fma_f64 v[98:99], v[80:81], s[10:11], v[177:178]
	v_fma_f64 v[80:81], v[78:79], s[18:19], -v[56:57]
	v_fma_f64 v[56:57], v[78:79], s[18:19], v[56:57]
	v_add_f64 v[78:79], v[147:148], v[114:115]
	v_add_f64 v[114:115], v[136:137], v[128:129]
	;; [unrolled: 1-line block ×8, first 2 shown]
	v_fma_f64 v[76:77], v[58:59], s[14:15], v[130:131]
	v_add_f64 v[40:41], v[40:41], -v[102:103]
	v_fma_f64 v[102:103], v[60:61], s[16:17], v[70:71]
	v_add_f64 v[42:43], v[106:107], v[42:43]
	v_add_f64 v[82:83], v[126:127], v[82:83]
	v_fma_f64 v[104:105], v[58:59], s[16:17], -v[90:91]
	v_add_f64 v[6:7], v[6:7], v[34:35]
	v_add_f64 v[4:5], v[4:5], v[32:33]
	;; [unrolled: 1-line block ×3, first 2 shown]
	v_fma_f64 v[84:85], v[60:61], s[4:5], v[48:49]
	v_fma_f64 v[96:97], v[58:59], s[4:5], -v[50:51]
	v_fma_f64 v[48:49], v[60:61], s[4:5], -v[48:49]
	v_fma_f64 v[50:51], v[58:59], s[4:5], v[50:51]
	v_fma_f64 v[32:33], v[60:61], s[14:15], v[44:45]
	v_fma_f64 v[44:45], v[60:61], s[14:15], -v[44:45]
	v_add_f64 v[12:13], v[112:113], v[12:13]
	v_add_f64 v[24:25], v[134:135], v[24:25]
	;; [unrolled: 1-line block ×4, first 2 shown]
	v_fma_f64 v[34:35], v[58:59], s[14:15], -v[130:131]
	v_fma_f64 v[60:61], v[60:61], s[16:17], -v[70:71]
	v_add_f64 v[70:71], v[98:99], v[78:79]
	v_add_f64 v[78:79], v[108:109], v[114:115]
	;; [unrolled: 1-line block ×5, first 2 shown]
	v_fma_f64 v[58:59], v[58:59], s[16:17], v[90:91]
	v_add_f64 v[46:47], v[46:47], v[2:3]
	v_add_f64 v[56:57], v[56:57], v[62:63]
	;; [unrolled: 1-line block ×11, first 2 shown]
	v_mul_u32_u24_e32 v44, 0xb0, v66
	v_add_f64 v[2:3], v[32:33], v[70:71]
	v_add_f64 v[0:1], v[34:35], v[78:79]
	;; [unrolled: 1-line block ×10, first 2 shown]
	v_add_nc_u32_e32 v44, 0, v44
	v_add_f64 v[10:11], v[62:63], v[10:11]
	v_add_f64 v[8:9], v[90:91], v[8:9]
	;; [unrolled: 1-line block ×3, first 2 shown]
	ds_store_b128 v44, v[28:31] offset:19408
	ds_store_b128 v44, v[16:19] offset:19392
	;; [unrolled: 1-line block ×11, first 2 shown]
.LBB0_23:
	s_or_b32 exec_lo, exec_lo, s33
	s_waitcnt lgkmcnt(0)
	s_barrier
	buffer_gl0_inv
	ds_load_b128 v[4:7], v142
	ds_load_b128 v[8:11], v142 offset:1760
	ds_load_b128 v[32:35], v142 offset:14960
	;; [unrolled: 1-line block ×13, first 2 shown]
	s_and_saveexec_b32 s1, s0
	s_cbranch_execz .LBB0_25
; %bb.24:
	ds_load_b128 v[28:31], v142 offset:12320
	ds_load_b128 v[36:39], v142 offset:25520
.LBB0_25:
	s_or_b32 exec_lo, exec_lo, s1
	v_add_nc_u32_e32 v70, 0x6e, v66
	v_and_b32_e32 v71, 0xff, v66
	v_add_nc_u32_e32 v74, 0x14a, v66
	v_add_nc_u32_e32 v73, 0x1b8, v66
	;; [unrolled: 1-line block ×3, first 2 shown]
	v_and_b32_e32 v72, 0xff, v70
	v_mul_lo_u16 v75, 0x75, v71
	v_add_nc_u32_e32 v78, 0x226, v66
	v_and_b32_e32 v82, 0xffff, v73
	v_and_b32_e32 v71, 0xffff, v67
	v_mul_lo_u16 v76, 0x75, v72
	v_lshrrev_b16 v80, 8, v75
	v_and_b32_e32 v75, 0xffff, v74
	v_add_nc_u32_e32 v79, 0x294, v66
	v_and_b32_e32 v83, 0xffff, v78
	v_lshrrev_b16 v81, 8, v76
	v_sub_nc_u16 v84, v66, v80
	v_mul_u32_u24_e32 v76, 0xba2f, v75
	v_mul_u32_u24_e32 v75, 0xba2f, v82
	;; [unrolled: 1-line block ×3, first 2 shown]
	v_sub_nc_u16 v86, v70, v81
	v_lshrrev_b16 v84, 1, v84
	v_and_b32_e32 v85, 0xffff, v79
	v_mul_u32_u24_e32 v83, 0xba2f, v83
	v_lshrrev_b32_e32 v120, 19, v77
	v_lshrrev_b16 v82, 1, v86
	v_and_b32_e32 v84, 0x7f, v84
	v_mul_u32_u24_e32 v85, 0xba2f, v85
	v_lshrrev_b32_e32 v123, 19, v83
	v_lshrrev_b32_e32 v121, 19, v76
	v_and_b32_e32 v82, 0x7f, v82
	v_add_nc_u16 v80, v84, v80
	v_lshrrev_b32_e32 v122, 19, v75
	v_lshrrev_b32_e32 v124, 19, v85
	v_mul_lo_u16 v83, v123, 11
	v_add_nc_u16 v81, v82, v81
	v_lshrrev_b16 v125, 3, v80
	v_mul_lo_u16 v82, v120, 11
	v_mul_lo_u16 v80, v121, 11
	;; [unrolled: 1-line block ×3, first 2 shown]
	v_lshrrev_b16 v126, 3, v81
	v_mul_lo_u16 v84, v125, 11
	v_mul_lo_u16 v81, v122, 11
	v_sub_nc_u16 v82, v67, v82
	v_sub_nc_u16 v78, v78, v83
	v_mul_lo_u16 v86, v126, 11
	v_sub_nc_u16 v84, v66, v84
	v_sub_nc_u16 v80, v74, v80
	;; [unrolled: 1-line block ×3, first 2 shown]
	v_and_b32_e32 v82, 0xffff, v82
	v_sub_nc_u16 v86, v70, v86
	v_and_b32_e32 v83, 0xff, v84
	v_sub_nc_u16 v79, v79, v85
	v_and_b32_e32 v85, 0xffff, v80
	v_lshlrev_b32_e32 v129, 4, v82
	v_and_b32_e32 v84, 0xff, v86
	v_lshlrev_b32_e32 v127, 4, v83
	v_and_b32_e32 v86, 0xffff, v81
	v_and_b32_e32 v90, 0xffff, v78
	;; [unrolled: 1-line block ×3, first 2 shown]
	v_lshlrev_b32_e32 v128, 4, v84
	global_load_b128 v[78:81], v127, s[8:9]
	v_lshlrev_b32_e32 v130, 4, v85
	v_lshlrev_b32_e32 v131, 4, v86
	s_clause 0x1
	global_load_b128 v[86:89], v129, s[8:9]
	global_load_b128 v[82:85], v128, s[8:9]
	v_lshlrev_b32_e32 v132, 4, v90
	global_load_b128 v[90:93], v130, s[8:9]
	v_lshlrev_b32_e32 v133, 4, v94
	s_clause 0x2
	global_load_b128 v[94:97], v131, s[8:9]
	global_load_b128 v[98:101], v132, s[8:9]
	;; [unrolled: 1-line block ×3, first 2 shown]
	s_waitcnt vmcnt(0) lgkmcnt(0)
	s_barrier
	buffer_gl0_inv
	v_mul_f64 v[106:107], v[62:63], v[80:81]
	v_mul_f64 v[80:81], v[60:61], v[80:81]
	;; [unrolled: 1-line block ×14, first 2 shown]
	v_fma_f64 v[60:61], v[60:61], v[78:79], v[106:107]
	v_fma_f64 v[62:63], v[62:63], v[78:79], -v[80:81]
	v_fma_f64 v[78:79], v[32:33], v[82:83], v[108:109]
	v_fma_f64 v[80:81], v[34:35], v[82:83], -v[84:85]
	;; [unrolled: 2-line block ×7, first 2 shown]
	v_add_f64 v[32:33], v[4:5], -v[60:61]
	v_add_f64 v[34:35], v[6:7], -v[62:63]
	;; [unrolled: 1-line block ×14, first 2 shown]
	v_and_b32_e32 v82, 0xffff, v125
	v_and_b32_e32 v84, 0xffff, v126
	v_mul_u32_u24_e32 v78, 0x160, v120
	v_mul_u32_u24_e32 v79, 0x160, v121
	;; [unrolled: 1-line block ×7, first 2 shown]
	v_add3_u32 v78, 0, v78, v129
	v_add3_u32 v82, 0, v82, v127
	;; [unrolled: 1-line block ×7, first 2 shown]
	v_fma_f64 v[4:5], v[4:5], 2.0, -v[32:33]
	v_fma_f64 v[6:7], v[6:7], 2.0, -v[34:35]
	;; [unrolled: 1-line block ×14, first 2 shown]
	ds_store_b128 v82, v[4:7]
	ds_store_b128 v82, v[32:35] offset:176
	ds_store_b128 v84, v[8:11]
	ds_store_b128 v84, v[40:43] offset:176
	ds_store_b128 v78, v[16:19]
	ds_store_b128 v78, v[44:47] offset:176
	ds_store_b128 v79, v[12:15]
	ds_store_b128 v79, v[48:51] offset:176
	ds_store_b128 v80, v[24:27]
	ds_store_b128 v80, v[52:55] offset:176
	ds_store_b128 v81, v[20:23]
	ds_store_b128 v81, v[56:59] offset:176
	ds_store_b128 v83, v[0:3]
	ds_store_b128 v83, v[60:63] offset:176
	s_and_saveexec_b32 s1, s0
	s_cbranch_execz .LBB0_27
; %bb.26:
	v_add_nc_u32_e32 v0, 0x302, v66
	s_delay_alu instid0(VALU_DEP_1) | instskip(NEXT) | instid1(VALU_DEP_1)
	v_and_b32_e32 v1, 0xffff, v0
	v_mul_u32_u24_e32 v1, 0xba2f, v1
	s_delay_alu instid0(VALU_DEP_1) | instskip(NEXT) | instid1(VALU_DEP_1)
	v_lshrrev_b32_e32 v8, 19, v1
	v_mul_lo_u16 v1, v8, 11
	v_mul_lo_u16 v8, v8, 22
	s_delay_alu instid0(VALU_DEP_2) | instskip(NEXT) | instid1(VALU_DEP_2)
	v_sub_nc_u16 v0, v0, v1
	v_and_b32_e32 v8, 0xffff, v8
	s_delay_alu instid0(VALU_DEP_2) | instskip(NEXT) | instid1(VALU_DEP_2)
	v_and_b32_e32 v0, 0xffff, v0
	v_lshlrev_b32_e32 v8, 4, v8
	s_delay_alu instid0(VALU_DEP_2)
	v_lshlrev_b32_e32 v9, 4, v0
	global_load_b128 v[0:3], v9, s[8:9]
	v_add3_u32 v8, 0, v9, v8
	s_waitcnt vmcnt(0)
	v_mul_f64 v[4:5], v[36:37], v[2:3]
	v_mul_f64 v[2:3], v[38:39], v[2:3]
	s_delay_alu instid0(VALU_DEP_2) | instskip(NEXT) | instid1(VALU_DEP_2)
	v_fma_f64 v[4:5], v[38:39], v[0:1], -v[4:5]
	v_fma_f64 v[0:1], v[36:37], v[0:1], v[2:3]
	s_delay_alu instid0(VALU_DEP_2) | instskip(NEXT) | instid1(VALU_DEP_2)
	v_add_f64 v[2:3], v[30:31], -v[4:5]
	v_add_f64 v[0:1], v[28:29], -v[0:1]
	s_delay_alu instid0(VALU_DEP_2) | instskip(NEXT) | instid1(VALU_DEP_2)
	v_fma_f64 v[6:7], v[30:31], 2.0, -v[2:3]
	v_fma_f64 v[4:5], v[28:29], 2.0, -v[0:1]
	ds_store_b128 v8, v[4:7]
	ds_store_b128 v8, v[0:3] offset:176
.LBB0_27:
	s_or_b32 exec_lo, exec_lo, s1
	v_lshrrev_b16 v0, 1, v66
	v_lshrrev_b16 v1, 1, v72
	v_lshrrev_b32_e32 v4, 20, v77
	v_lshrrev_b32_e32 v51, 20, v76
	;; [unrolled: 1-line block ×3, first 2 shown]
	v_and_b32_e32 v0, 0x7f, v0
	v_mul_lo_u16 v1, 0xbb, v1
	s_waitcnt lgkmcnt(0)
	v_mul_lo_u16 v3, v51, 22
	s_barrier
	v_mul_lo_u16 v0, 0xbb, v0
	v_lshrrev_b16 v47, 11, v1
	v_mul_lo_u16 v1, v4, 22
	v_sub_nc_u16 v3, v74, v3
	buffer_gl0_inv
	v_lshrrev_b16 v46, 11, v0
	v_mul_lo_u16 v0, v47, 22
	v_sub_nc_u16 v1, v67, v1
	v_and_b32_e32 v52, 0xffff, v3
	v_cmp_gt_u32_e64 s0, 0x42, v66
	v_mul_lo_u16 v2, v46, 22
	v_sub_nc_u16 v0, v70, v0
	v_and_b32_e32 v50, 0xffff, v1
	v_mul_lo_u16 v1, v54, 22
	s_mov_b32 s4, 0xe8584caa
	v_sub_nc_u16 v2, v66, v2
	v_and_b32_e32 v48, 0xff, v0
	v_lshlrev_b32_e32 v0, 5, v50
	v_sub_nc_u16 v1, v73, v1
	s_mov_b32 s5, 0xbfebb67a
	v_and_b32_e32 v49, 0xff, v2
	v_lshlrev_b32_e32 v2, 5, v48
	s_clause 0x1
	global_load_b128 v[5:8], v0, s[8:9] offset:192
	global_load_b128 v[9:12], v0, s[8:9] offset:176
	v_and_b32_e32 v53, 0xffff, v1
	v_lshlrev_b32_e32 v1, 5, v52
	v_lshlrev_b32_e32 v0, 5, v49
	s_clause 0x1
	global_load_b128 v[16:19], v2, s[8:9] offset:192
	global_load_b128 v[20:23], v2, s[8:9] offset:176
	s_mov_b32 s11, 0x3febb67a
	s_mov_b32 s10, s4
	v_and_b32_e32 v46, 0xffff, v46
	s_clause 0x2
	global_load_b128 v[24:27], v0, s[8:9] offset:176
	global_load_b128 v[28:31], v0, s[8:9] offset:192
	;; [unrolled: 1-line block ×3, first 2 shown]
	v_lshlrev_b32_e32 v0, 5, v53
	v_and_b32_e32 v47, 0xffff, v47
	v_mul_u32_u24_e32 v51, 0x420, v51
	s_clause 0x2
	global_load_b128 v[36:39], v1, s[8:9] offset:192
	global_load_b128 v[55:58], v0, s[8:9] offset:176
	;; [unrolled: 1-line block ×3, first 2 shown]
	ds_load_b128 v[40:43], v142 offset:12320
	ds_load_b128 v[73:76], v142 offset:21120
	;; [unrolled: 1-line block ×11, first 2 shown]
	v_mul_u32_u24_e32 v47, 0x420, v47
	v_lshlrev_b32_e32 v50, 4, v50
	v_lshlrev_b32_e32 v52, 4, v52
	;; [unrolled: 1-line block ×3, first 2 shown]
	s_mov_b32 s14, 0x134454ff
	s_mov_b32 s15, 0xbfee6f0e
	;; [unrolled: 1-line block ×5, first 2 shown]
	s_waitcnt vmcnt(9) lgkmcnt(9)
	v_mul_f64 v[44:45], v[75:76], v[7:8]
	s_waitcnt vmcnt(8)
	v_mul_f64 v[13:14], v[42:43], v[11:12]
	v_mul_f64 v[11:12], v[40:41], v[11:12]
	;; [unrolled: 1-line block ×3, first 2 shown]
	s_waitcnt vmcnt(7) lgkmcnt(7)
	v_mul_f64 v[111:112], v[83:84], v[18:19]
	s_waitcnt vmcnt(6)
	v_mul_f64 v[109:110], v[79:80], v[22:23]
	v_mul_f64 v[22:23], v[77:78], v[22:23]
	s_waitcnt vmcnt(5) lgkmcnt(6)
	v_mul_f64 v[113:114], v[87:88], v[26:27]
	s_waitcnt vmcnt(4) lgkmcnt(5)
	v_mul_f64 v[115:116], v[91:92], v[30:31]
	v_mul_f64 v[117:118], v[85:86], v[26:27]
	;; [unrolled: 1-line block ×4, first 2 shown]
	s_waitcnt vmcnt(3) lgkmcnt(4)
	v_mul_f64 v[121:122], v[95:96], v[34:35]
	v_mul_f64 v[34:35], v[93:94], v[34:35]
	s_waitcnt vmcnt(2) lgkmcnt(3)
	v_mul_f64 v[123:124], v[99:100], v[38:39]
	v_mul_f64 v[125:126], v[97:98], v[38:39]
	;; [unrolled: 3-line block ×4, first 2 shown]
	v_fma_f64 v[40:41], v[40:41], v[9:10], v[13:14]
	v_fma_f64 v[42:43], v[42:43], v[9:10], -v[11:12]
	v_fma_f64 v[12:13], v[73:74], v[5:6], v[44:45]
	v_fma_f64 v[14:15], v[75:76], v[5:6], -v[7:8]
	v_mov_b32_e32 v5, 0
	v_fma_f64 v[26:27], v[77:78], v[20:21], v[109:110]
	v_fma_f64 v[30:31], v[85:86], v[24:25], v[113:114]
	;; [unrolled: 1-line block ×3, first 2 shown]
	v_fma_f64 v[38:39], v[87:88], v[24:25], -v[117:118]
	v_fma_f64 v[10:11], v[91:92], v[28:29], -v[119:120]
	v_fma_f64 v[8:9], v[81:82], v[16:17], v[111:112]
	v_fma_f64 v[44:45], v[79:80], v[20:21], -v[22:23]
	v_fma_f64 v[16:17], v[83:84], v[16:17], -v[18:19]
	v_fma_f64 v[28:29], v[93:94], v[32:33], v[121:122]
	v_fma_f64 v[34:35], v[95:96], v[32:33], -v[34:35]
	v_fma_f64 v[18:19], v[97:98], v[36:37], v[123:124]
	;; [unrolled: 2-line block ×4, first 2 shown]
	v_fma_f64 v[24:25], v[107:108], v[59:60], -v[61:62]
	ds_load_b128 v[55:58], v142 offset:3520
	ds_load_b128 v[59:62], v142 offset:5280
	ds_load_b128 v[73:76], v142
	ds_load_b128 v[77:80], v142 offset:1760
	v_mul_lo_u16 v120, 0xf9, v72
	v_mul_u32_u24_e32 v121, 0xf83f, v71
	v_add_nc_u32_e32 v119, 0xffffffbe, v66
	v_mul_u32_u24_e32 v122, 0x420, v4
	s_waitcnt lgkmcnt(0)
	s_barrier
	buffer_gl0_inv
	v_add_f64 v[81:82], v[40:41], v[12:13]
	v_add_f64 v[83:84], v[42:43], v[14:15]
	;; [unrolled: 1-line block ×3, first 2 shown]
	v_add_f64 v[103:104], v[40:41], -v[12:13]
	v_add_f64 v[111:112], v[77:78], v[26:27]
	v_add_f64 v[87:88], v[30:31], v[6:7]
	;; [unrolled: 1-line block ×8, first 2 shown]
	v_add_f64 v[101:102], v[42:43], -v[14:15]
	v_add_f64 v[93:94], v[28:29], v[18:19]
	v_add_f64 v[95:96], v[34:35], v[20:21]
	;; [unrolled: 1-line block ×8, first 2 shown]
	v_add_f64 v[113:114], v[44:45], -v[16:17]
	v_add_f64 v[44:45], v[79:80], v[44:45]
	v_fma_f64 v[55:56], v[81:82], -0.5, v[55:56]
	v_add_f64 v[81:82], v[38:39], -v[10:11]
	v_fma_f64 v[83:84], v[83:84], -0.5, v[57:58]
	v_fma_f64 v[57:58], v[87:88], -0.5, v[73:74]
	v_add_f64 v[73:74], v[30:31], -v[6:7]
	v_fma_f64 v[75:76], v[89:90], -0.5, v[75:76]
	;; [unrolled: 3-line block ×3, first 2 shown]
	v_add_f64 v[87:88], v[34:35], -v[20:21]
	v_add_f64 v[89:90], v[28:29], -v[18:19]
	v_fma_f64 v[91:92], v[93:94], -0.5, v[59:60]
	v_fma_f64 v[62:63], v[95:96], -0.5, v[61:62]
	v_add_f64 v[93:94], v[36:37], -v[24:25]
	v_add_f64 v[95:96], v[32:33], -v[22:23]
	v_fma_f64 v[97:98], v[97:98], -0.5, v[0:1]
	v_fma_f64 v[99:100], v[99:100], -0.5, v[2:3]
	v_add_f64 v[0:1], v[71:72], v[12:13]
	v_add_f64 v[12:13], v[40:41], v[18:19]
	;; [unrolled: 1-line block ×10, first 2 shown]
	v_cndmask_b32_e64 v31, v119, v66, s0
	v_mul_u32_u24_e32 v119, 0x420, v54
	v_lshrrev_b16 v32, 14, v120
	v_lshrrev_b32_e32 v33, 22, v121
	s_delay_alu instid0(VALU_DEP_4) | instskip(SKIP_1) | instid1(VALU_DEP_4)
	v_lshlrev_b32_e32 v4, 2, v31
	v_lshlrev_b32_e32 v31, 4, v31
	v_mul_lo_u16 v30, 0x42, v32
	s_delay_alu instid0(VALU_DEP_4)
	v_mul_lo_u16 v120, 0x42, v33
	v_fma_f64 v[26:27], v[101:102], s[4:5], v[55:56]
	v_fma_f64 v[34:35], v[101:102], s[10:11], v[55:56]
	;; [unrolled: 1-line block ×4, first 2 shown]
	v_lshlrev_b64 v[10:11], 4, v[4:5]
	v_fma_f64 v[42:43], v[81:82], s[4:5], v[57:58]
	v_fma_f64 v[54:55], v[81:82], s[10:11], v[57:58]
	;; [unrolled: 1-line block ×16, first 2 shown]
	v_sub_nc_u16 v4, v70, v30
	v_add_co_u32 v16, s0, s8, v10
	v_lshlrev_b32_e32 v10, 4, v49
	v_add_co_ci_u32_e64 v17, s0, s9, v11, s0
	s_delay_alu instid0(VALU_DEP_4)
	v_and_b32_e32 v30, 0xff, v4
	v_mul_u32_u24_e32 v4, 0x420, v46
	v_lshlrev_b32_e32 v11, 4, v48
	v_add3_u32 v46, 0, v122, v50
	v_add3_u32 v48, 0, v51, v52
	;; [unrolled: 1-line block ×5, first 2 shown]
	v_cmp_lt_u32_e64 s0, 0x41, v66
	v_and_b32_e32 v32, 0xffff, v32
	v_lshlrev_b32_e32 v166, 4, v30
	s_mov_b32 s10, 0x4755a5e
	s_mov_b32 s11, 0xbfe2cf23
	v_cndmask_b32_e64 v63, 0, 0x14a0, s0
	v_mul_u32_u24_e32 v165, 0x14a0, v32
	ds_store_b128 v4, v[6:9]
	ds_store_b128 v4, v[42:45] offset:352
	ds_store_b128 v4, v[54:57] offset:704
	ds_store_b128 v10, v[22:25]
	ds_store_b128 v10, v[38:41] offset:352
	ds_store_b128 v10, v[58:61] offset:704
	;; [unrolled: 3-line block ×5, first 2 shown]
	v_sub_nc_u16 v0, v67, v120
	s_waitcnt lgkmcnt(0)
	s_barrier
	buffer_gl0_inv
	s_clause 0x3
	global_load_b128 v[6:9], v[16:17], off offset:880
	global_load_b128 v[10:13], v[16:17], off offset:896
	;; [unrolled: 1-line block ×4, first 2 shown]
	v_lshlrev_b32_e32 v1, 6, v30
	v_and_b32_e32 v34, 0xffff, v0
	s_clause 0x2
	global_load_b128 v[35:38], v1, s[8:9] offset:880
	global_load_b128 v[39:42], v1, s[8:9] offset:896
	;; [unrolled: 1-line block ×3, first 2 shown]
	v_lshlrev_b32_e32 v0, 6, v34
	s_clause 0x4
	global_load_b128 v[47:50], v1, s[8:9] offset:928
	global_load_b128 v[51:54], v0, s[8:9] offset:880
	;; [unrolled: 1-line block ×5, first 2 shown]
	ds_load_b128 v[14:17], v142 offset:5280
	ds_load_b128 v[75:78], v142 offset:10560
	;; [unrolled: 1-line block ×13, first 2 shown]
	v_lshlrev_b32_e32 v4, 2, v66
	v_add3_u32 v141, 0, v63, v31
	v_lshlrev_b32_e32 v167, 4, v34
	s_mov_b32 s12, s10
	s_mov_b32 s4, 0x372fe950
	;; [unrolled: 1-line block ×3, first 2 shown]
	s_waitcnt vmcnt(11) lgkmcnt(12)
	v_mul_f64 v[18:19], v[16:17], v[8:9]
	v_mul_f64 v[8:9], v[14:15], v[8:9]
	s_waitcnt vmcnt(10) lgkmcnt(11)
	v_mul_f64 v[119:120], v[77:78], v[12:13]
	v_mul_f64 v[12:13], v[75:76], v[12:13]
	;; [unrolled: 3-line block ×4, first 2 shown]
	s_waitcnt vmcnt(6) lgkmcnt(7)
	v_mul_f64 v[127:128], v[93:94], v[41:42]
	s_waitcnt vmcnt(5) lgkmcnt(6)
	v_mul_f64 v[129:130], v[97:98], v[45:46]
	v_mul_f64 v[41:42], v[91:92], v[41:42]
	;; [unrolled: 1-line block ×5, first 2 shown]
	s_waitcnt vmcnt(4) lgkmcnt(5)
	v_mul_f64 v[131:132], v[101:102], v[49:50]
	v_mul_f64 v[49:50], v[99:100], v[49:50]
	s_waitcnt vmcnt(3) lgkmcnt(3)
	v_mul_f64 v[133:134], v[105:106], v[53:54]
	s_waitcnt vmcnt(2) lgkmcnt(2)
	;; [unrolled: 2-line block ×3, first 2 shown]
	v_mul_f64 v[137:138], v[113:114], v[61:62]
	v_mul_f64 v[57:58], v[107:108], v[57:58]
	s_waitcnt vmcnt(0) lgkmcnt(0)
	v_mul_f64 v[139:140], v[117:118], v[73:74]
	v_mul_f64 v[61:62], v[111:112], v[61:62]
	;; [unrolled: 1-line block ×4, first 2 shown]
	v_fma_f64 v[20:21], v[14:15], v[6:7], v[18:19]
	v_fma_f64 v[18:19], v[16:17], v[6:7], -v[8:9]
	v_fma_f64 v[16:17], v[75:76], v[10:11], v[119:120]
	v_fma_f64 v[14:15], v[77:78], v[10:11], -v[12:13]
	v_fma_f64 v[10:11], v[79:80], v[22:23], v[121:122]
	v_fma_f64 v[12:13], v[81:82], v[22:23], -v[24:25]
	v_fma_f64 v[6:7], v[83:84], v[26:27], v[123:124]
	v_fma_f64 v[8:9], v[85:86], v[26:27], -v[28:29]
	v_fma_f64 v[77:78], v[91:92], v[39:40], v[127:128]
	v_fma_f64 v[79:80], v[95:96], v[43:44], v[129:130]
	v_fma_f64 v[39:40], v[93:94], v[39:40], -v[41:42]
	v_fma_f64 v[41:42], v[97:98], v[43:44], -v[45:46]
	v_fma_f64 v[75:76], v[87:88], v[35:36], v[125:126]
	v_fma_f64 v[81:82], v[89:90], v[35:36], -v[37:38]
	v_fma_f64 v[22:23], v[99:100], v[47:48], v[131:132]
	;; [unrolled: 2-line block ×3, first 2 shown]
	v_fma_f64 v[45:46], v[107:108], v[55:56], v[135:136]
	v_fma_f64 v[47:48], v[111:112], v[59:60], v[137:138]
	v_fma_f64 v[49:50], v[109:110], v[55:56], -v[57:58]
	v_fma_f64 v[26:27], v[115:116], v[71:72], v[139:140]
	v_fma_f64 v[55:56], v[113:114], v[59:60], -v[61:62]
	v_fma_f64 v[51:52], v[105:106], v[51:52], -v[53:54]
	;; [unrolled: 1-line block ×3, first 2 shown]
	v_lshlrev_b64 v[53:54], 4, v[4:5]
	v_lshlrev_b32_e32 v4, 2, v70
	ds_load_b128 v[35:38], v142
	v_mul_u32_u24_e32 v61, 0x14a0, v33
	ds_load_b128 v[30:33], v142 offset:1760
	s_waitcnt lgkmcnt(0)
	v_lshlrev_b64 v[62:63], 4, v[4:5]
	v_lshlrev_b32_e32 v4, 2, v67
	v_add_co_u32 v67, s0, s8, v53
	s_barrier
	buffer_gl0_inv
	v_add_f64 v[89:90], v[20:21], -v[16:17]
	v_add_f64 v[97:98], v[16:17], -v[20:21]
	v_add_f64 v[57:58], v[16:17], v[10:11]
	v_add_f64 v[83:84], v[14:15], v[12:13]
	;; [unrolled: 1-line block ×8, first 2 shown]
	v_add_f64 v[72:73], v[18:19], -v[8:9]
	v_add_f64 v[93:94], v[6:7], -v[10:11]
	v_add_f64 v[95:96], v[75:76], v[22:23]
	v_add_f64 v[103:104], v[81:82], v[24:25]
	v_add_f64 v[101:102], v[10:11], -v[6:7]
	v_add_f64 v[20:21], v[20:21], -v[6:7]
	v_add_f64 v[107:108], v[45:46], v[47:48]
	v_add_f64 v[115:116], v[18:19], -v[14:15]
	v_add_f64 v[109:110], v[43:44], v[26:27]
	v_add_f64 v[113:114], v[49:50], v[55:56]
	v_add_f64 v[18:19], v[14:15], -v[18:19]
	v_add_f64 v[117:118], v[51:52], v[28:29]
	v_add_f64 v[121:122], v[12:13], -v[8:9]
	v_add_f64 v[123:124], v[30:31], v[75:76]
	v_add_f64 v[137:138], v[32:33], v[81:82]
	;; [unrolled: 1-line block ×3, first 2 shown]
	v_add_f64 v[85:86], v[14:15], -v[12:13]
	v_add_f64 v[111:112], v[16:17], -v[10:11]
	;; [unrolled: 1-line block ×3, first 2 shown]
	v_add_f64 v[143:144], v[0:1], v[43:44]
	v_add_f64 v[125:126], v[81:82], -v[24:25]
	v_add_f64 v[129:130], v[75:76], -v[77:78]
	;; [unrolled: 1-line block ×10, first 2 shown]
	v_fma_f64 v[57:58], v[57:58], -0.5, v[35:36]
	v_fma_f64 v[83:84], v[83:84], -0.5, v[37:38]
	;; [unrolled: 1-line block ×4, first 2 shown]
	v_add_f64 v[16:17], v[59:60], v[16:17]
	v_fma_f64 v[91:92], v[91:92], -0.5, v[30:31]
	v_add_f64 v[14:15], v[105:106], v[14:15]
	v_fma_f64 v[99:100], v[99:100], -0.5, v[32:33]
	v_add_f64 v[147:148], v[81:82], -v[39:40]
	v_add_f64 v[81:82], v[39:40], -v[81:82]
	v_fma_f64 v[30:31], v[95:96], -0.5, v[30:31]
	v_fma_f64 v[32:33], v[103:104], -0.5, v[32:33]
	v_add_f64 v[95:96], v[49:50], -v[55:56]
	v_add_f64 v[155:156], v[51:52], -v[49:50]
	v_fma_f64 v[107:108], v[107:108], -0.5, v[0:1]
	v_add_f64 v[51:52], v[49:50], -v[51:52]
	v_fma_f64 v[0:1], v[109:110], -0.5, v[0:1]
	v_fma_f64 v[109:110], v[113:114], -0.5, v[2:3]
	v_add_f64 v[113:114], v[45:46], -v[47:48]
	v_fma_f64 v[2:3], v[117:118], -0.5, v[2:3]
	v_add_f64 v[59:60], v[89:90], v[93:94]
	v_add_f64 v[89:90], v[97:98], v[101:102]
	;; [unrolled: 1-line block ×8, first 2 shown]
	v_add_f64 v[131:132], v[22:23], -v[79:80]
	v_add_f64 v[135:136], v[79:80], -v[22:23]
	;; [unrolled: 1-line block ×8, first 2 shown]
	v_fma_f64 v[76:77], v[72:73], s[14:15], v[57:58]
	v_fma_f64 v[105:106], v[20:21], s[16:17], v[83:84]
	;; [unrolled: 1-line block ×24, first 2 shown]
	v_add_f64 v[10:11], v[16:17], v[10:11]
	v_add_f64 v[12:13], v[14:15], v[12:13]
	v_add_f64 v[14:15], v[18:19], v[79:80]
	v_add_f64 v[16:17], v[38:39], v[41:42]
	v_add_f64 v[38:39], v[49:50], v[55:56]
	v_add_f64 v[18:19], v[45:46], v[47:48]
	v_add_f64 v[129:130], v[129:130], v[131:132]
	v_add_f64 v[131:132], v[133:134], v[135:136]
	v_add_f64 v[133:134], v[51:52], v[159:160]
	v_add_f64 v[70:71], v[147:148], v[70:71]
	v_add_f64 v[81:82], v[81:82], v[87:88]
	v_add_f64 v[87:88], v[151:152], v[103:104]
	v_add_f64 v[103:104], v[153:154], v[117:118]
	v_add_f64 v[117:118], v[155:156], v[157:158]
	v_fma_f64 v[40:41], v[85:86], s[10:11], v[76:77]
	v_fma_f64 v[49:50], v[111:112], s[12:13], v[105:106]
	;; [unrolled: 1-line block ×24, first 2 shown]
	v_add_f64 v[0:1], v[10:11], v[6:7]
	v_add_f64 v[2:3], v[12:13], v[8:9]
	;; [unrolled: 1-line block ×6, first 2 shown]
	v_add_co_ci_u32_e64 v80, s0, s9, v54, s0
	v_add3_u32 v122, 0, v61, v167
	v_add_co_u32 v119, s0, 0x13f0, v67
	s_delay_alu instid0(VALU_DEP_1)
	v_add_co_ci_u32_e64 v120, s0, 0, v80, s0
	v_lshlrev_b64 v[115:116], 4, v[4:5]
	v_fma_f64 v[14:15], v[59:60], s[4:5], v[40:41]
	v_fma_f64 v[16:17], v[93:94], s[4:5], v[49:50]
	;; [unrolled: 1-line block ×24, first 2 shown]
	v_add_co_u32 v4, s0, s8, v62
	s_delay_alu instid0(VALU_DEP_1) | instskip(SKIP_1) | instid1(VALU_DEP_1)
	v_add_co_ci_u32_e64 v73, s0, s9, v63, s0
	v_add_co_u32 v62, s0, 0x1000, v67
	v_add_co_ci_u32_e64 v63, s0, 0, v80, s0
	s_delay_alu instid0(VALU_DEP_4) | instskip(NEXT) | instid1(VALU_DEP_1)
	v_add_co_u32 v70, s0, 0x13f0, v4
	v_add_co_ci_u32_e64 v71, s0, 0, v73, s0
	v_add_co_u32 v72, s0, 0x1000, v4
	s_delay_alu instid0(VALU_DEP_1) | instskip(SKIP_1) | instid1(VALU_DEP_1)
	v_add_co_ci_u32_e64 v73, s0, 0, v73, s0
	v_add_co_u32 v4, s0, s8, v115
	v_add_co_ci_u32_e64 v67, s0, s9, v116, s0
	v_add3_u32 v121, 0, v165, v166
	ds_store_b128 v141, v[0:3]
	ds_store_b128 v141, v[14:17] offset:1056
	ds_store_b128 v141, v[22:25] offset:2112
	ds_store_b128 v141, v[26:29] offset:3168
	ds_store_b128 v141, v[18:21] offset:4224
	ds_store_b128 v121, v[6:9]
	ds_store_b128 v121, v[30:33] offset:1056
	ds_store_b128 v121, v[38:41] offset:2112
	ds_store_b128 v121, v[42:45] offset:3168
	ds_store_b128 v121, v[34:37] offset:4224
	;; [unrolled: 5-line block ×3, first 2 shown]
	v_add_co_u32 v34, s0, 0x1000, v4
	s_delay_alu instid0(VALU_DEP_1)
	v_add_co_ci_u32_e64 v35, s0, 0, v67, s0
	s_waitcnt lgkmcnt(0)
	s_barrier
	buffer_gl0_inv
	s_clause 0x2
	global_load_b128 v[0:3], v[62:63], off offset:1008
	global_load_b128 v[6:9], v[119:120], off offset:32
	;; [unrolled: 1-line block ×3, first 2 shown]
	v_add_co_u32 v46, s0, 0x13f0, v4
	s_clause 0x3
	global_load_b128 v[14:17], v[119:120], off offset:48
	global_load_b128 v[18:21], v[72:73], off offset:1008
	;; [unrolled: 1-line block ×4, first 2 shown]
	v_add_co_ci_u32_e64 v47, s0, 0, v67, s0
	s_clause 0x4
	global_load_b128 v[30:33], v[70:71], off offset:48
	global_load_b128 v[34:37], v[34:35], off offset:1008
	;; [unrolled: 1-line block ×5, first 2 shown]
	ds_load_b128 v[50:53], v142 offset:5280
	ds_load_b128 v[54:57], v142 offset:10560
	;; [unrolled: 1-line block ×13, first 2 shown]
	s_waitcnt vmcnt(11) lgkmcnt(12)
	v_mul_f64 v[62:63], v[52:53], v[2:3]
	v_mul_f64 v[2:3], v[50:51], v[2:3]
	s_waitcnt vmcnt(9) lgkmcnt(11)
	v_mul_f64 v[110:111], v[56:57], v[12:13]
	v_mul_f64 v[12:13], v[54:55], v[12:13]
	s_waitcnt lgkmcnt(10)
	v_mul_f64 v[112:113], v[60:61], v[8:9]
	v_mul_f64 v[8:9], v[58:59], v[8:9]
	s_waitcnt vmcnt(8) lgkmcnt(9)
	v_mul_f64 v[114:115], v[72:73], v[16:17]
	v_mul_f64 v[16:17], v[70:71], v[16:17]
	s_waitcnt vmcnt(7) lgkmcnt(8)
	;; [unrolled: 3-line block ×3, first 2 shown]
	v_mul_f64 v[118:119], v[80:81], v[28:29]
	v_mul_f64 v[28:29], v[78:79], v[28:29]
	s_waitcnt lgkmcnt(6)
	v_mul_f64 v[120:121], v[84:85], v[24:25]
	v_mul_f64 v[24:25], v[82:83], v[24:25]
	s_waitcnt vmcnt(4) lgkmcnt(5)
	v_mul_f64 v[122:123], v[88:89], v[32:33]
	v_mul_f64 v[32:33], v[86:87], v[32:33]
	s_waitcnt vmcnt(3) lgkmcnt(3)
	;; [unrolled: 3-line block ×5, first 2 shown]
	v_mul_f64 v[130:131], v[108:109], v[48:49]
	v_mul_f64 v[48:49], v[106:107], v[48:49]
	v_fma_f64 v[50:51], v[50:51], v[0:1], v[62:63]
	v_fma_f64 v[52:53], v[52:53], v[0:1], -v[2:3]
	v_fma_f64 v[54:55], v[54:55], v[10:11], v[110:111]
	v_fma_f64 v[10:11], v[56:57], v[10:11], -v[12:13]
	;; [unrolled: 2-line block ×12, first 2 shown]
	ds_load_b128 v[0:3], v142
	ds_load_b128 v[6:9], v142 offset:1760
	s_waitcnt lgkmcnt(0)
	s_barrier
	buffer_gl0_inv
	v_add_f64 v[78:79], v[50:51], -v[54:55]
	v_add_f64 v[86:87], v[54:55], -v[50:51]
	v_add_f64 v[48:49], v[54:55], v[12:13]
	v_add_f64 v[72:73], v[10:11], v[56:57]
	;; [unrolled: 1-line block ×12, first 2 shown]
	v_add_f64 v[74:75], v[10:11], -v[56:57]
	v_add_f64 v[82:83], v[58:59], -v[12:13]
	;; [unrolled: 1-line block ×4, first 2 shown]
	v_add_f64 v[100:101], v[36:37], v[40:41]
	v_add_f64 v[102:103], v[38:39], v[42:43]
	;; [unrolled: 1-line block ×4, first 2 shown]
	v_add_f64 v[110:111], v[52:53], -v[10:11]
	v_add_f64 v[112:113], v[14:15], -v[56:57]
	v_add_f64 v[134:135], v[90:91], v[32:33]
	v_add_f64 v[136:137], v[92:93], v[34:35]
	v_add_f64 v[70:71], v[52:53], -v[14:15]
	v_add_f64 v[50:51], v[50:51], -v[58:59]
	;; [unrolled: 1-line block ×14, first 2 shown]
	v_fma_f64 v[48:49], v[48:49], -0.5, v[0:1]
	v_fma_f64 v[72:73], v[72:73], -0.5, v[2:3]
	;; [unrolled: 1-line block ×4, first 2 shown]
	v_add_f64 v[54:55], v[60:61], v[54:55]
	v_add_f64 v[10:11], v[98:99], v[10:11]
	v_add_f64 v[18:19], v[26:27], -v[18:19]
	v_add_f64 v[76:77], v[22:23], -v[30:31]
	v_fma_f64 v[80:81], v[80:81], -0.5, v[6:7]
	v_add_f64 v[20:21], v[116:117], v[20:21]
	v_fma_f64 v[6:7], v[84:85], -0.5, v[6:7]
	v_fma_f64 v[88:89], v[88:89], -0.5, v[8:9]
	;; [unrolled: 1-line block ×3, first 2 shown]
	v_add_f64 v[84:85], v[38:39], -v[42:43]
	v_add_f64 v[26:27], v[130:131], v[26:27]
	v_add_f64 v[124:125], v[24:25], -v[28:29]
	v_fma_f64 v[100:101], v[100:101], -0.5, v[90:91]
	v_fma_f64 v[102:103], v[102:103], -0.5, v[92:93]
	;; [unrolled: 1-line block ×4, first 2 shown]
	v_add_f64 v[128:129], v[28:29], -v[24:25]
	v_add_f64 v[94:95], v[32:33], -v[36:37]
	;; [unrolled: 1-line block ×6, first 2 shown]
	v_add_f64 v[60:61], v[78:79], v[82:83]
	v_add_f64 v[78:79], v[86:87], v[96:97]
	v_add_f64 v[82:83], v[110:111], v[112:113]
	v_add_f64 v[36:37], v[134:135], v[36:37]
	v_add_f64 v[38:39], v[136:137], v[38:39]
	v_add_f64 v[52:53], v[52:53], v[114:115]
	v_add_f64 v[104:105], v[44:45], -v[40:41]
	v_add_f64 v[106:107], v[40:41], -v[44:45]
	;; [unrolled: 1-line block ×4, first 2 shown]
	v_fma_f64 v[86:87], v[70:71], s[14:15], v[48:49]
	v_fma_f64 v[98:99], v[50:51], s[16:17], v[72:73]
	;; [unrolled: 1-line block ×24, first 2 shown]
	v_add_f64 v[12:13], v[54:55], v[12:13]
	v_add_f64 v[10:11], v[10:11], v[56:57]
	;; [unrolled: 1-line block ×14, first 2 shown]
	v_fma_f64 v[28:29], v[74:75], s[10:11], v[86:87]
	v_fma_f64 v[38:39], v[108:109], s[12:13], v[98:99]
	;; [unrolled: 1-line block ×24, first 2 shown]
	v_add_f64 v[0:1], v[12:13], v[58:59]
	v_add_f64 v[2:3], v[10:11], v[14:15]
	;; [unrolled: 1-line block ×6, first 2 shown]
	v_fma_f64 v[14:15], v[60:61], s[4:5], v[28:29]
	v_fma_f64 v[16:17], v[82:83], s[4:5], v[38:39]
	;; [unrolled: 1-line block ×24, first 2 shown]
	ds_store_b128 v142, v[0:3]
	ds_store_b128 v142, v[6:9] offset:1760
	ds_store_b128 v142, v[22:25] offset:10560
	;; [unrolled: 1-line block ×14, first 2 shown]
	s_waitcnt lgkmcnt(0)
	s_barrier
	buffer_gl0_inv
	s_and_saveexec_b32 s0, vcc_lo
	s_cbranch_execz .LBB0_29
; %bb.28:
	v_mul_lo_u32 v2, s3, v68
	v_mul_lo_u32 v3, s2, v69
	v_mad_u64_u32 v[0:1], null, s2, v68, 0
	v_lshl_add_u32 v28, v66, 4, 0
	v_dual_mov_b32 v67, v5 :: v_dual_add_nc_u32 v4, 0x6e, v66
	v_lshlrev_b64 v[10:11], 4, v[64:65]
	s_delay_alu instid0(VALU_DEP_4) | instskip(NEXT) | instid1(VALU_DEP_3)
	v_add3_u32 v1, v1, v3, v2
	v_lshlrev_b64 v[14:15], 4, v[66:67]
	s_delay_alu instid0(VALU_DEP_2)
	v_lshlrev_b64 v[12:13], 4, v[0:1]
	ds_load_b128 v[0:3], v28
	ds_load_b128 v[6:9], v28 offset:1760
	v_add_co_u32 v16, vcc_lo, s6, v12
	v_add_co_ci_u32_e32 v17, vcc_lo, s7, v13, vcc_lo
	v_lshlrev_b64 v[12:13], 4, v[4:5]
	s_delay_alu instid0(VALU_DEP_3) | instskip(NEXT) | instid1(VALU_DEP_3)
	v_add_co_u32 v30, vcc_lo, v16, v10
	v_add_co_ci_u32_e32 v31, vcc_lo, v17, v11, vcc_lo
	v_add_nc_u32_e32 v4, 0xdc, v66
	s_delay_alu instid0(VALU_DEP_3) | instskip(NEXT) | instid1(VALU_DEP_3)
	v_add_co_u32 v10, vcc_lo, v30, v14
	v_add_co_ci_u32_e32 v11, vcc_lo, v31, v15, vcc_lo
	s_delay_alu instid0(VALU_DEP_3) | instskip(SKIP_3) | instid1(VALU_DEP_4)
	v_lshlrev_b64 v[14:15], 4, v[4:5]
	v_add_co_u32 v12, vcc_lo, v30, v12
	v_add_co_ci_u32_e32 v13, vcc_lo, v31, v13, vcc_lo
	v_add_nc_u32_e32 v4, 0x14a, v66
	v_add_co_u32 v20, vcc_lo, v30, v14
	s_waitcnt lgkmcnt(1)
	global_store_b128 v[10:11], v[0:3], off
	s_waitcnt lgkmcnt(0)
	global_store_b128 v[12:13], v[6:9], off
	v_add_co_ci_u32_e32 v21, vcc_lo, v31, v15, vcc_lo
	v_lshlrev_b64 v[18:19], 4, v[4:5]
	v_add_nc_u32_e32 v4, 0x1b8, v66
	ds_load_b128 v[0:3], v28 offset:3520
	ds_load_b128 v[6:9], v28 offset:5280
	;; [unrolled: 1-line block ×4, first 2 shown]
	v_lshlrev_b64 v[22:23], 4, v[4:5]
	v_add_nc_u32_e32 v4, 0x226, v66
	v_add_co_u32 v18, vcc_lo, v30, v18
	v_add_co_ci_u32_e32 v19, vcc_lo, v31, v19, vcc_lo
	s_delay_alu instid0(VALU_DEP_3) | instskip(SKIP_3) | instid1(VALU_DEP_4)
	v_lshlrev_b64 v[24:25], 4, v[4:5]
	v_add_nc_u32_e32 v4, 0x294, v66
	v_add_co_u32 v22, vcc_lo, v30, v22
	v_add_co_ci_u32_e32 v23, vcc_lo, v31, v23, vcc_lo
	v_add_co_u32 v24, vcc_lo, v30, v24
	s_delay_alu instid0(VALU_DEP_4)
	v_lshlrev_b64 v[26:27], 4, v[4:5]
	v_add_nc_u32_e32 v4, 0x302, v66
	v_add_co_ci_u32_e32 v25, vcc_lo, v31, v25, vcc_lo
	s_waitcnt lgkmcnt(3)
	global_store_b128 v[20:21], v[0:3], off
	s_waitcnt lgkmcnt(2)
	global_store_b128 v[18:19], v[6:9], off
	;; [unrolled: 2-line block ×4, first 2 shown]
	ds_load_b128 v[0:3], v28 offset:10560
	ds_load_b128 v[6:9], v28 offset:12320
	v_lshlrev_b64 v[18:19], 4, v[4:5]
	v_add_nc_u32_e32 v4, 0x370, v66
	ds_load_b128 v[10:13], v28 offset:14080
	ds_load_b128 v[14:17], v28 offset:15840
	v_add_co_u32 v20, vcc_lo, v30, v26
	v_add_co_ci_u32_e32 v21, vcc_lo, v31, v27, vcc_lo
	v_lshlrev_b64 v[22:23], 4, v[4:5]
	v_add_nc_u32_e32 v4, 0x3de, v66
	v_add_co_u32 v18, vcc_lo, v30, v18
	v_add_co_ci_u32_e32 v19, vcc_lo, v31, v19, vcc_lo
	s_delay_alu instid0(VALU_DEP_3) | instskip(SKIP_3) | instid1(VALU_DEP_3)
	v_lshlrev_b64 v[24:25], 4, v[4:5]
	v_add_nc_u32_e32 v4, 0x44c, v66
	v_add_co_u32 v22, vcc_lo, v30, v22
	v_add_co_ci_u32_e32 v23, vcc_lo, v31, v23, vcc_lo
	v_lshlrev_b64 v[26:27], 4, v[4:5]
	v_add_nc_u32_e32 v4, 0x4ba, v66
	v_add_co_u32 v24, vcc_lo, v30, v24
	v_add_co_ci_u32_e32 v25, vcc_lo, v31, v25, vcc_lo
	s_waitcnt lgkmcnt(3)
	global_store_b128 v[20:21], v[0:3], off
	s_waitcnt lgkmcnt(2)
	global_store_b128 v[18:19], v[6:9], off
	;; [unrolled: 2-line block ×4, first 2 shown]
	v_lshlrev_b64 v[10:11], 4, v[4:5]
	v_add_co_u32 v22, vcc_lo, v30, v26
	v_add_nc_u32_e32 v4, 0x528, v66
	v_add_co_ci_u32_e32 v23, vcc_lo, v31, v27, vcc_lo
	s_delay_alu instid0(VALU_DEP_4)
	v_add_co_u32 v26, vcc_lo, v30, v10
	ds_load_b128 v[0:3], v28 offset:17600
	ds_load_b128 v[6:9], v28 offset:19360
	v_add_co_ci_u32_e32 v27, vcc_lo, v31, v11, vcc_lo
	ds_load_b128 v[10:13], v28 offset:21120
	ds_load_b128 v[14:17], v28 offset:22880
	;; [unrolled: 1-line block ×3, first 2 shown]
	v_lshlrev_b64 v[24:25], 4, v[4:5]
	v_add_nc_u32_e32 v4, 0x596, v66
	s_delay_alu instid0(VALU_DEP_1) | instskip(SKIP_1) | instid1(VALU_DEP_4)
	v_lshlrev_b64 v[28:29], 4, v[4:5]
	v_add_nc_u32_e32 v4, 0x604, v66
	v_add_co_u32 v24, vcc_lo, v30, v24
	v_add_co_ci_u32_e32 v25, vcc_lo, v31, v25, vcc_lo
	s_delay_alu instid0(VALU_DEP_3) | instskip(SKIP_2) | instid1(VALU_DEP_3)
	v_lshlrev_b64 v[4:5], 4, v[4:5]
	v_add_co_u32 v28, vcc_lo, v30, v28
	v_add_co_ci_u32_e32 v29, vcc_lo, v31, v29, vcc_lo
	v_add_co_u32 v4, vcc_lo, v30, v4
	s_delay_alu instid0(VALU_DEP_4)
	v_add_co_ci_u32_e32 v5, vcc_lo, v31, v5, vcc_lo
	s_waitcnt lgkmcnt(4)
	global_store_b128 v[22:23], v[0:3], off
	s_waitcnt lgkmcnt(3)
	global_store_b128 v[26:27], v[6:9], off
	;; [unrolled: 2-line block ×5, first 2 shown]
.LBB0_29:
	s_nop 0
	s_sendmsg sendmsg(MSG_DEALLOC_VGPRS)
	s_endpgm
	.section	.rodata,"a",@progbits
	.p2align	6, 0x0
	.amdhsa_kernel fft_rtc_back_len1650_factors_11_2_3_5_5_wgs_110_tpt_110_halfLds_dp_op_CI_CI_unitstride_sbrr_C2R_dirReg
		.amdhsa_group_segment_fixed_size 0
		.amdhsa_private_segment_fixed_size 0
		.amdhsa_kernarg_size 104
		.amdhsa_user_sgpr_count 15
		.amdhsa_user_sgpr_dispatch_ptr 0
		.amdhsa_user_sgpr_queue_ptr 0
		.amdhsa_user_sgpr_kernarg_segment_ptr 1
		.amdhsa_user_sgpr_dispatch_id 0
		.amdhsa_user_sgpr_private_segment_size 0
		.amdhsa_wavefront_size32 1
		.amdhsa_uses_dynamic_stack 0
		.amdhsa_enable_private_segment 0
		.amdhsa_system_sgpr_workgroup_id_x 1
		.amdhsa_system_sgpr_workgroup_id_y 0
		.amdhsa_system_sgpr_workgroup_id_z 0
		.amdhsa_system_sgpr_workgroup_info 0
		.amdhsa_system_vgpr_workitem_id 0
		.amdhsa_next_free_vgpr 193
		.amdhsa_next_free_sgpr 40
		.amdhsa_reserve_vcc 1
		.amdhsa_float_round_mode_32 0
		.amdhsa_float_round_mode_16_64 0
		.amdhsa_float_denorm_mode_32 3
		.amdhsa_float_denorm_mode_16_64 3
		.amdhsa_dx10_clamp 1
		.amdhsa_ieee_mode 1
		.amdhsa_fp16_overflow 0
		.amdhsa_workgroup_processor_mode 1
		.amdhsa_memory_ordered 1
		.amdhsa_forward_progress 0
		.amdhsa_shared_vgpr_count 0
		.amdhsa_exception_fp_ieee_invalid_op 0
		.amdhsa_exception_fp_denorm_src 0
		.amdhsa_exception_fp_ieee_div_zero 0
		.amdhsa_exception_fp_ieee_overflow 0
		.amdhsa_exception_fp_ieee_underflow 0
		.amdhsa_exception_fp_ieee_inexact 0
		.amdhsa_exception_int_div_zero 0
	.end_amdhsa_kernel
	.text
.Lfunc_end0:
	.size	fft_rtc_back_len1650_factors_11_2_3_5_5_wgs_110_tpt_110_halfLds_dp_op_CI_CI_unitstride_sbrr_C2R_dirReg, .Lfunc_end0-fft_rtc_back_len1650_factors_11_2_3_5_5_wgs_110_tpt_110_halfLds_dp_op_CI_CI_unitstride_sbrr_C2R_dirReg
                                        ; -- End function
	.section	.AMDGPU.csdata,"",@progbits
; Kernel info:
; codeLenInByte = 18172
; NumSgprs: 42
; NumVgprs: 193
; ScratchSize: 0
; MemoryBound: 0
; FloatMode: 240
; IeeeMode: 1
; LDSByteSize: 0 bytes/workgroup (compile time only)
; SGPRBlocks: 5
; VGPRBlocks: 24
; NumSGPRsForWavesPerEU: 42
; NumVGPRsForWavesPerEU: 193
; Occupancy: 7
; WaveLimiterHint : 1
; COMPUTE_PGM_RSRC2:SCRATCH_EN: 0
; COMPUTE_PGM_RSRC2:USER_SGPR: 15
; COMPUTE_PGM_RSRC2:TRAP_HANDLER: 0
; COMPUTE_PGM_RSRC2:TGID_X_EN: 1
; COMPUTE_PGM_RSRC2:TGID_Y_EN: 0
; COMPUTE_PGM_RSRC2:TGID_Z_EN: 0
; COMPUTE_PGM_RSRC2:TIDIG_COMP_CNT: 0
	.text
	.p2alignl 7, 3214868480
	.fill 96, 4, 3214868480
	.type	__hip_cuid_a97f0770aff6fed5,@object ; @__hip_cuid_a97f0770aff6fed5
	.section	.bss,"aw",@nobits
	.globl	__hip_cuid_a97f0770aff6fed5
__hip_cuid_a97f0770aff6fed5:
	.byte	0                               ; 0x0
	.size	__hip_cuid_a97f0770aff6fed5, 1

	.ident	"AMD clang version 19.0.0git (https://github.com/RadeonOpenCompute/llvm-project roc-6.4.0 25133 c7fe45cf4b819c5991fe208aaa96edf142730f1d)"
	.section	".note.GNU-stack","",@progbits
	.addrsig
	.addrsig_sym __hip_cuid_a97f0770aff6fed5
	.amdgpu_metadata
---
amdhsa.kernels:
  - .args:
      - .actual_access:  read_only
        .address_space:  global
        .offset:         0
        .size:           8
        .value_kind:     global_buffer
      - .offset:         8
        .size:           8
        .value_kind:     by_value
      - .actual_access:  read_only
        .address_space:  global
        .offset:         16
        .size:           8
        .value_kind:     global_buffer
      - .actual_access:  read_only
        .address_space:  global
        .offset:         24
        .size:           8
        .value_kind:     global_buffer
      - .actual_access:  read_only
        .address_space:  global
        .offset:         32
        .size:           8
        .value_kind:     global_buffer
      - .offset:         40
        .size:           8
        .value_kind:     by_value
      - .actual_access:  read_only
        .address_space:  global
        .offset:         48
        .size:           8
        .value_kind:     global_buffer
      - .actual_access:  read_only
        .address_space:  global
        .offset:         56
        .size:           8
        .value_kind:     global_buffer
      - .offset:         64
        .size:           4
        .value_kind:     by_value
      - .actual_access:  read_only
        .address_space:  global
        .offset:         72
        .size:           8
        .value_kind:     global_buffer
      - .actual_access:  read_only
        .address_space:  global
        .offset:         80
        .size:           8
        .value_kind:     global_buffer
      - .actual_access:  read_only
        .address_space:  global
        .offset:         88
        .size:           8
        .value_kind:     global_buffer
      - .actual_access:  write_only
        .address_space:  global
        .offset:         96
        .size:           8
        .value_kind:     global_buffer
    .group_segment_fixed_size: 0
    .kernarg_segment_align: 8
    .kernarg_segment_size: 104
    .language:       OpenCL C
    .language_version:
      - 2
      - 0
    .max_flat_workgroup_size: 110
    .name:           fft_rtc_back_len1650_factors_11_2_3_5_5_wgs_110_tpt_110_halfLds_dp_op_CI_CI_unitstride_sbrr_C2R_dirReg
    .private_segment_fixed_size: 0
    .sgpr_count:     42
    .sgpr_spill_count: 0
    .symbol:         fft_rtc_back_len1650_factors_11_2_3_5_5_wgs_110_tpt_110_halfLds_dp_op_CI_CI_unitstride_sbrr_C2R_dirReg.kd
    .uniform_work_group_size: 1
    .uses_dynamic_stack: false
    .vgpr_count:     193
    .vgpr_spill_count: 0
    .wavefront_size: 32
    .workgroup_processor_mode: 1
amdhsa.target:   amdgcn-amd-amdhsa--gfx1100
amdhsa.version:
  - 1
  - 2
...

	.end_amdgpu_metadata
